;; amdgpu-corpus repo=ROCm/rocFFT kind=compiled arch=gfx1030 opt=O3
	.text
	.amdgcn_target "amdgcn-amd-amdhsa--gfx1030"
	.amdhsa_code_object_version 6
	.protected	fft_rtc_back_len1352_factors_2_13_13_4_wgs_52_tpt_52_halfLds_sp_ip_CI_sbrr_dirReg ; -- Begin function fft_rtc_back_len1352_factors_2_13_13_4_wgs_52_tpt_52_halfLds_sp_ip_CI_sbrr_dirReg
	.globl	fft_rtc_back_len1352_factors_2_13_13_4_wgs_52_tpt_52_halfLds_sp_ip_CI_sbrr_dirReg
	.p2align	8
	.type	fft_rtc_back_len1352_factors_2_13_13_4_wgs_52_tpt_52_halfLds_sp_ip_CI_sbrr_dirReg,@function
fft_rtc_back_len1352_factors_2_13_13_4_wgs_52_tpt_52_halfLds_sp_ip_CI_sbrr_dirReg: ; @fft_rtc_back_len1352_factors_2_13_13_4_wgs_52_tpt_52_halfLds_sp_ip_CI_sbrr_dirReg
; %bb.0:
	s_clause 0x2
	s_load_dwordx2 s[14:15], s[4:5], 0x18
	s_load_dwordx4 s[8:11], s[4:5], 0x0
	s_load_dwordx2 s[12:13], s[4:5], 0x50
	v_mul_u32_u24_e32 v1, 0x4ed, v0
	v_mov_b32_e32 v3, 0
	v_add_nc_u32_sdwa v5, s6, v1 dst_sel:DWORD dst_unused:UNUSED_PAD src0_sel:DWORD src1_sel:WORD_1
	v_mov_b32_e32 v1, 0
	v_mov_b32_e32 v6, v3
	v_mov_b32_e32 v2, 0
	s_waitcnt lgkmcnt(0)
	s_load_dwordx2 s[2:3], s[14:15], 0x0
	v_cmp_lt_u64_e64 s0, s[10:11], 2
	s_and_b32 vcc_lo, exec_lo, s0
	s_cbranch_vccnz .LBB0_8
; %bb.1:
	s_load_dwordx2 s[0:1], s[4:5], 0x10
	v_mov_b32_e32 v1, 0
	s_add_u32 s6, s14, 8
	v_mov_b32_e32 v2, 0
	s_addc_u32 s7, s15, 0
	s_mov_b64 s[18:19], 1
	s_waitcnt lgkmcnt(0)
	s_add_u32 s16, s0, 8
	s_addc_u32 s17, s1, 0
.LBB0_2:                                ; =>This Inner Loop Header: Depth=1
	s_load_dwordx2 s[20:21], s[16:17], 0x0
                                        ; implicit-def: $vgpr7_vgpr8
	s_mov_b32 s0, exec_lo
	s_waitcnt lgkmcnt(0)
	v_or_b32_e32 v4, s21, v6
	v_cmpx_ne_u64_e32 0, v[3:4]
	s_xor_b32 s1, exec_lo, s0
	s_cbranch_execz .LBB0_4
; %bb.3:                                ;   in Loop: Header=BB0_2 Depth=1
	v_cvt_f32_u32_e32 v4, s20
	v_cvt_f32_u32_e32 v7, s21
	s_sub_u32 s0, 0, s20
	s_subb_u32 s22, 0, s21
	v_fmac_f32_e32 v4, 0x4f800000, v7
	v_rcp_f32_e32 v4, v4
	v_mul_f32_e32 v4, 0x5f7ffffc, v4
	v_mul_f32_e32 v7, 0x2f800000, v4
	v_trunc_f32_e32 v7, v7
	v_fmac_f32_e32 v4, 0xcf800000, v7
	v_cvt_u32_f32_e32 v7, v7
	v_cvt_u32_f32_e32 v4, v4
	v_mul_lo_u32 v8, s0, v7
	v_mul_hi_u32 v9, s0, v4
	v_mul_lo_u32 v10, s22, v4
	v_add_nc_u32_e32 v8, v9, v8
	v_mul_lo_u32 v9, s0, v4
	v_add_nc_u32_e32 v8, v8, v10
	v_mul_hi_u32 v10, v4, v9
	v_mul_lo_u32 v11, v4, v8
	v_mul_hi_u32 v12, v4, v8
	v_mul_hi_u32 v13, v7, v9
	v_mul_lo_u32 v9, v7, v9
	v_mul_hi_u32 v14, v7, v8
	v_mul_lo_u32 v8, v7, v8
	v_add_co_u32 v10, vcc_lo, v10, v11
	v_add_co_ci_u32_e32 v11, vcc_lo, 0, v12, vcc_lo
	v_add_co_u32 v9, vcc_lo, v10, v9
	v_add_co_ci_u32_e32 v9, vcc_lo, v11, v13, vcc_lo
	v_add_co_ci_u32_e32 v10, vcc_lo, 0, v14, vcc_lo
	v_add_co_u32 v8, vcc_lo, v9, v8
	v_add_co_ci_u32_e32 v9, vcc_lo, 0, v10, vcc_lo
	v_add_co_u32 v4, vcc_lo, v4, v8
	v_add_co_ci_u32_e32 v7, vcc_lo, v7, v9, vcc_lo
	v_mul_hi_u32 v8, s0, v4
	v_mul_lo_u32 v10, s22, v4
	v_mul_lo_u32 v9, s0, v7
	v_add_nc_u32_e32 v8, v8, v9
	v_mul_lo_u32 v9, s0, v4
	v_add_nc_u32_e32 v8, v8, v10
	v_mul_hi_u32 v10, v4, v9
	v_mul_lo_u32 v11, v4, v8
	v_mul_hi_u32 v12, v4, v8
	v_mul_hi_u32 v13, v7, v9
	v_mul_lo_u32 v9, v7, v9
	v_mul_hi_u32 v14, v7, v8
	v_mul_lo_u32 v8, v7, v8
	v_add_co_u32 v10, vcc_lo, v10, v11
	v_add_co_ci_u32_e32 v11, vcc_lo, 0, v12, vcc_lo
	v_add_co_u32 v9, vcc_lo, v10, v9
	v_add_co_ci_u32_e32 v9, vcc_lo, v11, v13, vcc_lo
	v_add_co_ci_u32_e32 v10, vcc_lo, 0, v14, vcc_lo
	v_add_co_u32 v8, vcc_lo, v9, v8
	v_add_co_ci_u32_e32 v9, vcc_lo, 0, v10, vcc_lo
	v_add_co_u32 v4, vcc_lo, v4, v8
	v_add_co_ci_u32_e32 v11, vcc_lo, v7, v9, vcc_lo
	v_mul_hi_u32 v13, v5, v4
	v_mad_u64_u32 v[9:10], null, v6, v4, 0
	v_mad_u64_u32 v[7:8], null, v5, v11, 0
	;; [unrolled: 1-line block ×3, first 2 shown]
	v_add_co_u32 v4, vcc_lo, v13, v7
	v_add_co_ci_u32_e32 v7, vcc_lo, 0, v8, vcc_lo
	v_add_co_u32 v4, vcc_lo, v4, v9
	v_add_co_ci_u32_e32 v4, vcc_lo, v7, v10, vcc_lo
	v_add_co_ci_u32_e32 v7, vcc_lo, 0, v12, vcc_lo
	v_add_co_u32 v4, vcc_lo, v4, v11
	v_add_co_ci_u32_e32 v9, vcc_lo, 0, v7, vcc_lo
	v_mul_lo_u32 v10, s21, v4
	v_mad_u64_u32 v[7:8], null, s20, v4, 0
	v_mul_lo_u32 v11, s20, v9
	v_sub_co_u32 v7, vcc_lo, v5, v7
	v_add3_u32 v8, v8, v11, v10
	v_sub_nc_u32_e32 v10, v6, v8
	v_subrev_co_ci_u32_e64 v10, s0, s21, v10, vcc_lo
	v_add_co_u32 v11, s0, v4, 2
	v_add_co_ci_u32_e64 v12, s0, 0, v9, s0
	v_sub_co_u32 v13, s0, v7, s20
	v_sub_co_ci_u32_e32 v8, vcc_lo, v6, v8, vcc_lo
	v_subrev_co_ci_u32_e64 v10, s0, 0, v10, s0
	v_cmp_le_u32_e32 vcc_lo, s20, v13
	v_cmp_eq_u32_e64 s0, s21, v8
	v_cndmask_b32_e64 v13, 0, -1, vcc_lo
	v_cmp_le_u32_e32 vcc_lo, s21, v10
	v_cndmask_b32_e64 v14, 0, -1, vcc_lo
	v_cmp_le_u32_e32 vcc_lo, s20, v7
	;; [unrolled: 2-line block ×3, first 2 shown]
	v_cndmask_b32_e64 v15, 0, -1, vcc_lo
	v_cmp_eq_u32_e32 vcc_lo, s21, v10
	v_cndmask_b32_e64 v7, v15, v7, s0
	v_cndmask_b32_e32 v10, v14, v13, vcc_lo
	v_add_co_u32 v13, vcc_lo, v4, 1
	v_add_co_ci_u32_e32 v14, vcc_lo, 0, v9, vcc_lo
	v_cmp_ne_u32_e32 vcc_lo, 0, v10
	v_cndmask_b32_e32 v8, v14, v12, vcc_lo
	v_cndmask_b32_e32 v10, v13, v11, vcc_lo
	v_cmp_ne_u32_e32 vcc_lo, 0, v7
	v_cndmask_b32_e32 v8, v9, v8, vcc_lo
	v_cndmask_b32_e32 v7, v4, v10, vcc_lo
.LBB0_4:                                ;   in Loop: Header=BB0_2 Depth=1
	s_andn2_saveexec_b32 s0, s1
	s_cbranch_execz .LBB0_6
; %bb.5:                                ;   in Loop: Header=BB0_2 Depth=1
	v_cvt_f32_u32_e32 v4, s20
	s_sub_i32 s1, 0, s20
	v_rcp_iflag_f32_e32 v4, v4
	v_mul_f32_e32 v4, 0x4f7ffffe, v4
	v_cvt_u32_f32_e32 v4, v4
	v_mul_lo_u32 v7, s1, v4
	v_mul_hi_u32 v7, v4, v7
	v_add_nc_u32_e32 v4, v4, v7
	v_mul_hi_u32 v4, v5, v4
	v_mul_lo_u32 v7, v4, s20
	v_add_nc_u32_e32 v8, 1, v4
	v_sub_nc_u32_e32 v7, v5, v7
	v_subrev_nc_u32_e32 v9, s20, v7
	v_cmp_le_u32_e32 vcc_lo, s20, v7
	v_cndmask_b32_e32 v7, v7, v9, vcc_lo
	v_cndmask_b32_e32 v4, v4, v8, vcc_lo
	v_cmp_le_u32_e32 vcc_lo, s20, v7
	v_add_nc_u32_e32 v8, 1, v4
	v_cndmask_b32_e32 v7, v4, v8, vcc_lo
	v_mov_b32_e32 v8, v3
.LBB0_6:                                ;   in Loop: Header=BB0_2 Depth=1
	s_or_b32 exec_lo, exec_lo, s0
	s_load_dwordx2 s[0:1], s[6:7], 0x0
	v_mul_lo_u32 v4, v8, s20
	v_mul_lo_u32 v11, v7, s21
	v_mad_u64_u32 v[9:10], null, v7, s20, 0
	s_add_u32 s18, s18, 1
	s_addc_u32 s19, s19, 0
	s_add_u32 s6, s6, 8
	s_addc_u32 s7, s7, 0
	;; [unrolled: 2-line block ×3, first 2 shown]
	v_add3_u32 v4, v10, v11, v4
	v_sub_co_u32 v5, vcc_lo, v5, v9
	v_sub_co_ci_u32_e32 v4, vcc_lo, v6, v4, vcc_lo
	s_waitcnt lgkmcnt(0)
	v_mul_lo_u32 v6, s1, v5
	v_mul_lo_u32 v4, s0, v4
	v_mad_u64_u32 v[1:2], null, s0, v5, v[1:2]
	v_cmp_ge_u64_e64 s0, s[18:19], s[10:11]
	s_and_b32 vcc_lo, exec_lo, s0
	v_add3_u32 v2, v6, v2, v4
	s_cbranch_vccnz .LBB0_9
; %bb.7:                                ;   in Loop: Header=BB0_2 Depth=1
	v_mov_b32_e32 v5, v7
	v_mov_b32_e32 v6, v8
	s_branch .LBB0_2
.LBB0_8:
	v_mov_b32_e32 v8, v6
	v_mov_b32_e32 v7, v5
.LBB0_9:
	s_lshl_b64 s[0:1], s[10:11], 3
	v_mul_hi_u32 v3, 0x4ec4ec5, v0
	s_add_u32 s0, s14, s0
	s_addc_u32 s1, s15, s1
	s_load_dwordx2 s[4:5], s[4:5], 0x20
	s_load_dwordx2 s[0:1], s[0:1], 0x0
                                        ; implicit-def: $vgpr72
                                        ; implicit-def: $vgpr73
                                        ; implicit-def: $vgpr74
                                        ; implicit-def: $vgpr75
                                        ; implicit-def: $vgpr76
                                        ; implicit-def: $vgpr71
	v_mul_u32_u24_e32 v3, 52, v3
	v_sub_nc_u32_e32 v61, v0, v3
	v_add_nc_u32_e32 v67, 52, v61
	v_add_nc_u32_e32 v66, 0x68, v61
	;; [unrolled: 1-line block ×5, first 2 shown]
	s_waitcnt lgkmcnt(0)
	v_cmp_gt_u64_e32 vcc_lo, s[4:5], v[7:8]
	v_mul_lo_u32 v3, s0, v8
	v_mul_lo_u32 v4, s1, v7
	v_mad_u64_u32 v[0:1], null, s0, v7, v[1:2]
	v_cmp_le_u64_e64 s0, s[4:5], v[7:8]
	v_add_nc_u32_e32 v37, 0x1a0, v61
	v_add_nc_u32_e32 v34, 0x208, v61
	;; [unrolled: 1-line block ×3, first 2 shown]
                                        ; implicit-def: $sgpr4_sgpr5
	v_add3_u32 v1, v4, v1, v3
	s_and_saveexec_b32 s1, s0
	s_xor_b32 s0, exec_lo, s1
; %bb.10:
	v_add_nc_u32_e32 v72, 52, v61
	v_add_nc_u32_e32 v73, 0x68, v61
	;; [unrolled: 1-line block ×9, first 2 shown]
	s_mov_b64 s[4:5], 0
; %bb.11:
	s_or_saveexec_b32 s1, s0
	v_mov_b32_e32 v27, s5
	v_lshlrev_b64 v[24:25], 3, v[0:1]
	v_mov_b32_e32 v29, s5
	v_mov_b32_e32 v21, s5
	;; [unrolled: 1-line block ×13, first 2 shown]
	v_add_nc_u32_e32 v70, 0x2a4, v61
	v_add_nc_u32_e32 v69, 0x2d8, v61
	;; [unrolled: 1-line block ×3, first 2 shown]
	v_or_b32_e32 v65, 0x340, v61
	v_mov_b32_e32 v28, s4
	v_mov_b32_e32 v20, s4
	;; [unrolled: 1-line block ×12, first 2 shown]
                                        ; implicit-def: $vgpr33
                                        ; implicit-def: $vgpr31
                                        ; implicit-def: $vgpr36
                                        ; implicit-def: $vgpr44
                                        ; implicit-def: $vgpr48
                                        ; implicit-def: $vgpr52
                                        ; implicit-def: $vgpr23
                                        ; implicit-def: $vgpr46
                                        ; implicit-def: $vgpr50
                                        ; implicit-def: $vgpr56
                                        ; implicit-def: $vgpr54
                                        ; implicit-def: $vgpr58
                                        ; implicit-def: $vgpr60
	s_xor_b32 exec_lo, exec_lo, s1
	s_cbranch_execz .LBB0_13
; %bb.12:
	v_mad_u64_u32 v[0:1], null, s2, v61, 0
	v_mad_u64_u32 v[2:3], null, s2, v70, 0
	;; [unrolled: 1-line block ×3, first 2 shown]
	v_add_co_u32 v57, s0, s12, v24
	v_add_co_ci_u32_e64 v58, s0, s13, v25, s0
	v_mad_u64_u32 v[6:7], null, s3, v61, v[1:2]
	v_mad_u64_u32 v[7:8], null, s2, v69, 0
	;; [unrolled: 1-line block ×4, first 2 shown]
	v_mov_b32_e32 v1, v6
	v_mad_u64_u32 v[17:18], null, s2, v65, 0
	v_mov_b32_e32 v6, v8
	v_mov_b32_e32 v3, v9
	v_lshlrev_b64 v[0:1], 3, v[0:1]
	v_add_nc_u32_e32 v26, 0x374, v61
	v_add_nc_u32_e32 v71, 0x138, v61
	v_mad_u64_u32 v[8:9], null, s3, v67, v[5:6]
	v_mad_u64_u32 v[12:13], null, s3, v69, v[6:7]
	v_mov_b32_e32 v6, v11
	v_lshlrev_b64 v[2:3], 3, v[2:3]
	v_add_co_u32 v0, s0, v57, v0
	v_mov_b32_e32 v5, v8
	v_mad_u64_u32 v[14:15], null, s3, v66, v[6:7]
	v_mov_b32_e32 v8, v12
	v_mad_u64_u32 v[12:13], null, s2, v68, 0
	v_lshlrev_b64 v[4:5], 3, v[4:5]
	v_mad_u64_u32 v[15:16], null, s2, v64, 0
	v_lshlrev_b64 v[6:7], 3, v[7:8]
	v_mov_b32_e32 v11, v14
	v_add_co_ci_u32_e64 v1, s0, v58, v1, s0
	v_mov_b32_e32 v8, v13
	v_add_co_u32 v2, s0, v57, v2
	v_add_co_ci_u32_e64 v3, s0, v58, v3, s0
	v_mad_u64_u32 v[8:9], null, s3, v68, v[8:9]
	v_add_co_u32 v4, s0, v57, v4
	v_lshlrev_b64 v[10:11], 3, v[10:11]
	v_add_co_ci_u32_e64 v5, s0, v58, v5, s0
	v_mov_b32_e32 v9, v16
	v_add_co_u32 v6, s0, v57, v6
	v_mov_b32_e32 v13, v8
	v_add_co_ci_u32_e64 v7, s0, v58, v7, s0
	v_add_co_u32 v8, s0, v57, v10
	v_mad_u64_u32 v[19:20], null, s3, v64, v[9:10]
	v_add_co_ci_u32_e64 v9, s0, v58, v11, s0
	v_lshlrev_b64 v[10:11], 3, v[12:13]
	v_mad_u64_u32 v[13:14], null, s2, v63, 0
	v_mov_b32_e32 v12, v18
	v_mov_b32_e32 v16, v19
	v_add_nc_u32_e32 v35, 0x3dc, v61
	v_add_co_u32 v10, s0, v57, v10
	v_add_co_ci_u32_e64 v11, s0, v58, v11, s0
	v_mad_u64_u32 v[18:19], null, s3, v65, v[12:13]
	v_mov_b32_e32 v12, v14
	v_mad_u64_u32 v[19:20], null, s2, v26, 0
	v_lshlrev_b64 v[14:15], 3, v[15:16]
	v_mad_u64_u32 v[30:31], null, s2, v35, 0
	v_mad_u64_u32 v[21:22], null, s3, v63, v[12:13]
	v_add_nc_u32_e32 v43, 0x16c, v61
	v_mov_b32_e32 v12, v20
	v_add_co_u32 v22, s0, v57, v14
	v_add_co_ci_u32_e64 v23, s0, v58, v15, s0
	v_lshlrev_b64 v[15:16], 3, v[17:18]
	v_mad_u64_u32 v[17:18], null, s2, v62, 0
	v_mov_b32_e32 v14, v21
	v_mad_u64_u32 v[20:21], null, s3, v26, v[12:13]
	v_add_nc_u32_e32 v21, 0x3a8, v61
	v_add_co_u32 v15, s0, v57, v15
	v_lshlrev_b64 v[13:14], 3, v[13:14]
	v_mov_b32_e32 v12, v18
	v_mad_u64_u32 v[26:27], null, s2, v21, 0
	v_add_co_ci_u32_e64 v16, s0, v58, v16, s0
	v_mad_u64_u32 v[28:29], null, s3, v62, v[12:13]
	v_add_co_u32 v12, s0, v57, v13
	v_add_co_ci_u32_e64 v13, s0, v58, v14, s0
	v_mov_b32_e32 v14, v27
	v_lshlrev_b64 v[19:20], 3, v[19:20]
	v_mov_b32_e32 v18, v28
	v_mad_u64_u32 v[32:33], null, s2, v43, 0
	v_mad_u64_u32 v[27:28], null, s3, v21, v[14:15]
	;; [unrolled: 1-line block ×3, first 2 shown]
	v_add_co_u32 v39, s0, v57, v19
	v_add_co_ci_u32_e64 v40, s0, v58, v20, s0
	v_lshlrev_b64 v[17:18], 3, v[17:18]
	v_mov_b32_e32 v19, v31
	v_mov_b32_e32 v14, v29
	v_add_co_u32 v41, s0, v57, v17
	v_mad_u64_u32 v[20:21], null, s3, v71, v[14:15]
	v_mov_b32_e32 v14, v33
	v_add_co_ci_u32_e64 v42, s0, v58, v18, s0
	v_lshlrev_b64 v[17:18], 3, v[26:27]
	v_mad_u64_u32 v[26:27], null, s2, v37, 0
	v_mad_u64_u32 v[35:36], null, s3, v35, v[19:20]
	v_add_nc_u32_e32 v36, 0x410, v61
	v_mov_b32_e32 v29, v20
	v_mad_u64_u32 v[19:20], null, s3, v43, v[14:15]
	v_add_co_u32 v45, s0, v57, v17
	v_mad_u64_u32 v[20:21], null, s2, v36, 0
	v_mov_b32_e32 v31, v35
	v_add_co_ci_u32_e64 v46, s0, v58, v18, s0
	v_lshlrev_b64 v[17:18], 3, v[28:29]
	v_mov_b32_e32 v33, v19
	v_lshlrev_b64 v[28:29], 3, v[30:31]
	v_mov_b32_e32 v14, v21
	v_mov_b32_e32 v21, v27
	v_add_co_u32 v47, s0, v57, v17
	v_mad_u64_u32 v[30:31], null, s3, v36, v[14:15]
	v_mad_u64_u32 v[35:36], null, s3, v37, v[21:22]
	v_add_co_ci_u32_e64 v48, s0, v58, v18, s0
	v_lshlrev_b64 v[17:18], 3, v[32:33]
	v_add_nc_u32_e32 v32, 0x444, v61
	v_add_co_u32 v49, s0, v57, v28
	v_add_nc_u32_e32 v33, 0x1d4, v61
	v_add_co_ci_u32_e64 v50, s0, v58, v29, s0
	v_mad_u64_u32 v[28:29], null, s2, v32, 0
	v_mov_b32_e32 v21, v30
	v_mov_b32_e32 v27, v35
	v_mad_u64_u32 v[30:31], null, s2, v33, 0
	v_add_nc_u32_e32 v35, 0x478, v61
	v_add_co_u32 v51, s0, v57, v17
	v_add_co_ci_u32_e64 v52, s0, v58, v18, s0
	v_mov_b32_e32 v14, v29
	v_mad_u64_u32 v[17:18], null, s2, v35, 0
	v_lshlrev_b64 v[20:21], 3, v[20:21]
	v_mov_b32_e32 v19, v31
	v_mad_u64_u32 v[31:32], null, s3, v32, v[14:15]
	v_lshlrev_b64 v[26:27], 3, v[26:27]
	v_mad_u64_u32 v[32:33], null, s3, v33, v[19:20]
	v_mov_b32_e32 v14, v18
	v_add_co_u32 v53, s0, v57, v20
	v_mov_b32_e32 v29, v31
	v_add_co_ci_u32_e64 v54, s0, v58, v21, s0
	v_mad_u64_u32 v[18:19], null, s3, v35, v[14:15]
	v_mad_u64_u32 v[19:20], null, s2, v34, 0
	v_mov_b32_e32 v31, v32
	v_add_co_u32 v55, s0, v57, v26
	v_add_co_ci_u32_e64 v56, s0, v58, v27, s0
	v_lshlrev_b64 v[26:27], 3, v[28:29]
	v_lshlrev_b64 v[28:29], 3, v[30:31]
	v_add_nc_u32_e32 v30, 0x4ac, v61
	v_mov_b32_e32 v14, v20
	v_lshlrev_b64 v[17:18], 3, v[17:18]
	v_add_nc_u32_e32 v33, 0x4e0, v61
	v_add_co_u32 v72, s0, v57, v26
	v_add_co_ci_u32_e64 v73, s0, v58, v27, s0
	v_mad_u64_u32 v[26:27], null, s2, v30, 0
	v_mad_u64_u32 v[20:21], null, s3, v34, v[14:15]
	v_add_nc_u32_e32 v21, 0x23c, v61
	v_add_co_u32 v74, s0, v57, v28
	v_add_co_ci_u32_e64 v75, s0, v58, v29, s0
	v_mad_u64_u32 v[28:29], null, s2, v21, 0
	v_mov_b32_e32 v14, v27
	v_add_co_u32 v76, s0, v57, v17
	v_add_co_ci_u32_e64 v77, s0, v58, v18, s0
	v_mad_u64_u32 v[30:31], null, s3, v30, v[14:15]
	v_mov_b32_e32 v14, v29
	v_mad_u64_u32 v[31:32], null, s2, v33, 0
	v_lshlrev_b64 v[17:18], 3, v[19:20]
	v_mad_u64_u32 v[35:36], null, s2, v38, 0
	v_mad_u64_u32 v[20:21], null, s3, v21, v[14:15]
	v_mov_b32_e32 v27, v30
	v_add_nc_u32_e32 v30, 0x514, v61
	v_mov_b32_e32 v19, v32
	v_add_co_u32 v78, s0, v57, v17
	v_mov_b32_e32 v14, v36
	v_mad_u64_u32 v[43:44], null, s2, v30, 0
	v_mov_b32_e32 v29, v20
	v_mad_u64_u32 v[32:33], null, s3, v33, v[19:20]
	v_add_co_ci_u32_e64 v79, s0, v58, v18, s0
	v_lshlrev_b64 v[20:21], 3, v[28:29]
	v_mov_b32_e32 v19, v44
	v_lshlrev_b64 v[17:18], 3, v[26:27]
	v_mad_u64_u32 v[26:27], null, s3, v38, v[14:15]
	v_mad_u64_u32 v[27:28], null, s3, v30, v[19:20]
	v_add_co_u32 v80, s0, v57, v17
	v_add_co_ci_u32_e64 v81, s0, v58, v18, s0
	v_lshlrev_b64 v[17:18], 3, v[31:32]
	v_mov_b32_e32 v36, v26
	v_add_co_u32 v82, s0, v57, v20
	v_mov_b32_e32 v44, v27
	v_add_co_ci_u32_e64 v83, s0, v58, v21, s0
	v_lshlrev_b64 v[19:20], 3, v[35:36]
	v_add_co_u32 v84, s0, v57, v17
	v_add_co_ci_u32_e64 v85, s0, v58, v18, s0
	v_lshlrev_b64 v[17:18], 3, v[43:44]
	v_add_co_u32 v86, s0, v57, v19
	v_add_co_ci_u32_e64 v87, s0, v58, v20, s0
	v_add_co_u32 v88, s0, v57, v17
	v_add_co_ci_u32_e64 v89, s0, v58, v18, s0
	s_clause 0x19
	global_load_dwordx2 v[26:27], v[0:1], off
	global_load_dwordx2 v[32:33], v[2:3], off
	;; [unrolled: 1-line block ×26, first 2 shown]
	v_mov_b32_e32 v76, v62
	v_mov_b32_e32 v75, v63
	;; [unrolled: 1-line block ×5, first 2 shown]
.LBB0_13:
	s_or_b32 exec_lo, exec_lo, s1
	s_waitcnt vmcnt(24)
	v_sub_f32_e32 v98, v27, v33
	v_sub_f32_e32 v32, v26, v32
	s_waitcnt vmcnt(22)
	v_sub_f32_e32 v40, v28, v30
	v_sub_f32_e32 v100, v29, v31
	s_waitcnt vmcnt(18)
	v_sub_f32_e32 v30, v18, v59
	s_waitcnt vmcnt(16)
	;; [unrolled: 2-line block ×3, first 2 shown]
	v_sub_f32_e32 v80, v6, v57
	v_fma_f32 v97, v27, 2.0, -v98
	v_sub_f32_e32 v27, v20, v35
	v_fma_f32 v31, v26, 2.0, -v32
	v_fma_f32 v39, v28, 2.0, -v40
	;; [unrolled: 1-line block ×4, first 2 shown]
	v_lshl_add_u32 v101, v61, 3, 0
	v_fma_f32 v41, v2, 2.0, -v42
	v_fma_f32 v79, v6, 2.0, -v80
	v_lshl_add_u32 v2, v72, 3, 0
	v_lshl_add_u32 v6, v74, 3, 0
	v_fma_f32 v26, v20, 2.0, -v27
	s_waitcnt vmcnt(12)
	v_sub_f32_e32 v33, v10, v47
	v_lshl_add_u32 v47, v73, 3, 0
	s_waitcnt vmcnt(10)
	v_sub_f32_e32 v82, v14, v51
	ds_write_b64 v101, v[31:32]
	ds_write_b64 v2, v[39:40]
	;; [unrolled: 1-line block ×3, first 2 shown]
	s_waitcnt vmcnt(8)
	v_sub_f32_e32 v27, v0, v22
	ds_write_b64 v6, v[29:30]
	s_waitcnt vmcnt(6)
	v_sub_f32_e32 v29, v4, v45
	s_waitcnt vmcnt(4)
	v_sub_f32_e32 v31, v8, v49
	v_fma_f32 v32, v10, 2.0, -v33
	v_lshl_add_u32 v51, v75, 3, 0
	v_lshl_add_u32 v102, v76, 3, 0
	v_lshl_add_u32 v78, v71, 3, 0
	v_fma_f32 v81, v14, 2.0, -v82
	v_fma_f32 v26, v0, 2.0, -v27
	;; [unrolled: 1-line block ×3, first 2 shown]
	v_lshl_add_u32 v0, v37, 3, 0
	v_lshlrev_b32_e32 v4, 2, v37
	v_fma_f32 v30, v8, 2.0, -v31
	v_lshl_add_u32 v103, v34, 3, 0
	v_lshlrev_b32_e32 v8, 2, v34
	ds_write_b64 v51, v[41:42]
	ds_write_b64 v102, v[79:80]
	ds_write_b64 v78, v[32:33]
	s_waitcnt vmcnt(2)
	v_sub_f32_e32 v33, v12, v53
	s_waitcnt vmcnt(0)
	v_sub_f32_e32 v40, v16, v55
	ds_write_b64 v101, v[81:82] offset:2912
	v_lshl_add_u32 v45, v61, 2, 0
	v_lshlrev_b32_e32 v80, 2, v71
	v_lshlrev_b32_e32 v81, 2, v75
	v_sub_nc_u32_e32 v87, v0, v4
	v_sub_f32_e32 v22, v21, v36
	v_sub_f32_e32 v20, v19, v60
	;; [unrolled: 1-line block ×3, first 2 shown]
	v_lshlrev_b32_e32 v79, 2, v73
	v_sub_nc_u32_e32 v88, v103, v8
	v_sub_f32_e32 v8, v7, v58
	v_fma_f32 v32, v12, 2.0, -v33
	v_sub_f32_e32 v12, v11, v48
	v_fma_f32 v39, v16, 2.0, -v40
	v_lshl_add_u32 v104, v38, 3, 0
	v_lshlrev_b32_e32 v10, 2, v38
	v_sub_f32_e32 v16, v15, v52
	v_sub_nc_u32_e32 v86, v78, v80
	v_sub_nc_u32_e32 v83, v51, v81
	v_add_nc_u32_e32 v84, 0x600, v45
	v_fma_f32 v21, v21, 2.0, -v22
	v_fma_f32 v19, v19, 2.0, -v20
	;; [unrolled: 1-line block ×3, first 2 shown]
	v_and_b32_e32 v44, 1, v61
	v_sub_nc_u32_e32 v82, v47, v79
	v_fma_f32 v7, v7, 2.0, -v8
	v_lshl_add_u32 v57, v72, 2, 0
	v_fma_f32 v11, v11, 2.0, -v12
	v_sub_nc_u32_e32 v85, v104, v10
	v_fma_f32 v15, v15, 2.0, -v16
	ds_write_b64 v0, v[26:27]
	ds_write_b64 v101, v[28:29] offset:3744
	ds_write_b64 v103, v[30:31]
	ds_write_b64 v101, v[32:33] offset:4576
	ds_write_b64 v104, v[39:40]
	s_waitcnt lgkmcnt(0)
	s_barrier
	buffer_gl0_inv
	ds_read_b32 v91, v86
	ds_read_b32 v90, v87
	;; [unrolled: 1-line block ×4, first 2 shown]
	v_add_nc_u32_e32 v49, 0x800, v45
	v_add_nc_u32_e32 v53, 0xc00, v45
	;; [unrolled: 1-line block ×5, first 2 shown]
	ds_read_b32 v92, v83
	ds_read_b32 v95, v82
	;; [unrolled: 1-line block ×3, first 2 shown]
	ds_read_b32 v96, v45 offset:5200
	ds_read2_b32 v[26:27], v45 offset1:156
	ds_read2_b32 v[30:31], v49 offset0:164 offset1:216
	ds_read2_b32 v[34:35], v53 offset0:12 offset1:64
	;; [unrolled: 1-line block ×8, first 2 shown]
	s_waitcnt lgkmcnt(0)
	s_barrier
	buffer_gl0_inv
	ds_write_b64 v101, v[97:98]
	ds_write_b64 v2, v[99:100]
	;; [unrolled: 1-line block ×4, first 2 shown]
	v_sub_f32_e32 v2, v1, v23
	v_sub_f32_e32 v18, v17, v56
	ds_write_b64 v51, v[3:4]
	ds_write_b64 v102, v[7:8]
	;; [unrolled: 1-line block ×3, first 2 shown]
	ds_write_b64 v101, v[15:16] offset:2912
	v_mul_u32_u24_e32 v3, 12, v44
	v_sub_f32_e32 v6, v5, v46
	v_sub_f32_e32 v10, v9, v50
	;; [unrolled: 1-line block ×3, first 2 shown]
	v_fma_f32 v1, v1, 2.0, -v2
	v_fma_f32 v17, v17, 2.0, -v18
	v_lshlrev_b32_e32 v16, 3, v3
	v_fma_f32 v5, v5, 2.0, -v6
	v_fma_f32 v9, v9, 2.0, -v10
	;; [unrolled: 1-line block ×3, first 2 shown]
	ds_write_b64 v0, v[1:2]
	ds_write_b64 v101, v[5:6] offset:3744
	ds_write_b64 v103, v[9:10]
	ds_write_b64 v101, v[13:14] offset:4576
	ds_write_b64 v104, v[17:18]
	s_waitcnt lgkmcnt(0)
	s_barrier
	buffer_gl0_inv
	s_clause 0x5
	global_load_dwordx4 v[0:3], v16, s[8:9] offset:64
	global_load_dwordx4 v[4:7], v16, s[8:9] offset:80
	;; [unrolled: 1-line block ×5, first 2 shown]
	global_load_dwordx4 v[16:19], v16, s[8:9]
	ds_read2_b32 v[107:108], v53 offset0:116 offset1:168
	ds_read2_b32 v[109:110], v59 offset0:92 offset1:144
	;; [unrolled: 1-line block ×4, first 2 shown]
	ds_read_b32 v125, v45 offset:5200
	ds_read2_b32 v[115:116], v53 offset0:12 offset1:64
	ds_read2_b32 v[117:118], v49 offset0:164 offset1:216
	ds_read_b32 v126, v85
	ds_read2_b32 v[119:120], v84 offset0:84 offset1:188
	ds_read_b32 v127, v88
	ds_read_b32 v128, v87
	ds_read2_b32 v[121:122], v77 offset0:4 offset1:108
	ds_read_b32 v129, v86
	ds_read_b32 v130, v83
	;; [unrolled: 1-line block ×4, first 2 shown]
	ds_read2_b32 v[123:124], v45 offset1:156
	v_lshrrev_b32_e32 v46, 1, v61
	s_waitcnt vmcnt(0) lgkmcnt(0)
	s_barrier
	buffer_gl0_inv
	v_cmp_gt_u32_e64 s0, 26, v61
	v_mul_u32_u24_e32 v46, 26, v46
	v_or_b32_e32 v46, v46, v44
	v_lshl_add_u32 v46, v46, 2, 0
	v_mul_f32_e32 v103, v108, v1
	v_mul_f32_e32 v132, v33, v1
	;; [unrolled: 1-line block ×37, first 2 shown]
	v_fmac_f32_e32 v154, v95, v16
	v_mul_f32_e32 v136, v39, v5
	v_mul_f32_e32 v99, v113, v5
	;; [unrolled: 1-line block ×11, first 2 shown]
	v_fma_f32 v9, v114, v6, -v138
	v_fmac_f32_e32 v105, v39, v4
	v_fmac_f32_e32 v56, v40, v0
	v_fma_f32 v39, v109, v0, -v134
	v_fmac_f32_e32 v103, v33, v0
	v_fma_f32 v17, v108, v0, -v132
	v_fmac_f32_e32 v3, v35, v10
	v_fmac_f32_e32 v48, v34, v8
	v_fma_f32 v15, v116, v10, -v141
	v_fma_f32 v19, v115, v8, -v142
	v_fmac_f32_e32 v52, v32, v10
	v_fma_f32 v23, v107, v10, -v143
	v_fmac_f32_e32 v1, v31, v8
	;; [unrolled: 2-line block ×3, first 2 shown]
	v_fmac_f32_e32 v7, v94, v12
	v_fma_f32 v8, v127, v12, -v146
	v_fmac_f32_e32 v54, v37, v12
	v_fma_f32 v30, v120, v12, -v148
	;; [unrolled: 2-line block ×6, first 2 shown]
	v_fma_f32 v20, v131, v16, -v155
	v_fmac_f32_e32 v106, v92, v18
	v_add_f32_e32 v32, v26, v154
	v_fmac_f32_e32 v137, v43, v6
	v_fmac_f32_e32 v102, v27, v16
	v_sub_f32_e32 v27, v20, v9
	v_fmac_f32_e32 v99, v42, v4
	v_add_f32_e32 v32, v32, v106
	v_fma_f32 v42, v113, v4, -v139
	v_fmac_f32_e32 v101, v96, v6
	v_fma_f32 v43, v125, v6, -v140
	v_fma_f32 v4, v112, v4, -v136
	v_fmac_f32_e32 v104, v41, v2
	v_fma_f32 v6, v110, v2, -v133
	v_fmac_f32_e32 v60, v38, v2
	;; [unrolled: 2-line block ×3, first 2 shown]
	v_fma_f32 v2, v126, v14, -v147
	v_fma_f32 v21, v117, v14, -v145
	v_fmac_f32_e32 v100, v28, v18
	v_fma_f32 v28, v121, v18, -v153
	v_fma_f32 v14, v130, v18, -v156
	;; [unrolled: 1-line block ×3, first 2 shown]
	v_add_f32_e32 v29, v154, v137
	v_add_f32_e32 v34, v20, v9
	v_add_f32_e32 v16, v123, v20
	v_mul_f32_e32 v20, 0xbeedf032, v27
	v_mul_f32_e32 v35, 0xbf52af12, v27
	;; [unrolled: 1-line block ×6, first 2 shown]
	v_add_f32_e32 v32, v32, v13
	v_sub_f32_e32 v36, v14, v4
	v_fmamk_f32 v94, v29, 0x3f62ad3f, v20
	v_fma_f32 v20, 0x3f62ad3f, v29, -v20
	v_fmamk_f32 v96, v29, 0x3f116cb1, v35
	v_fma_f32 v35, 0x3f116cb1, v29, -v35
	;; [unrolled: 2-line block ×6, first 2 shown]
	v_add_f32_e32 v32, v32, v11
	v_sub_f32_e32 v33, v154, v137
	v_add_f32_e32 v37, v106, v105
	v_sub_f32_e32 v108, v12, v6
	v_mul_f32_e32 v91, 0x3f62ad3f, v34
	v_mul_f32_e32 v92, 0x3f116cb1, v34
	;; [unrolled: 1-line block ×8, first 2 shown]
	v_add_f32_e32 v160, v26, v94
	v_add_f32_e32 v161, v26, v20
	;; [unrolled: 1-line block ×14, first 2 shown]
	v_sub_f32_e32 v110, v10, v17
	v_mul_f32_e32 v119, 0xbe750f2a, v108
	v_mul_f32_e32 v120, 0x3f6f5d39, v108
	v_fmamk_f32 v29, v33, 0x3eedf032, v91
	v_fmac_f32_e32 v91, 0xbeedf032, v33
	v_fmamk_f32 v140, v33, 0x3f52af12, v92
	v_fmac_f32_e32 v92, 0xbf52af12, v33
	;; [unrolled: 2-line block ×6, first 2 shown]
	v_fmamk_f32 v33, v37, 0xbeb58ec6, v117
	v_fmamk_f32 v145, v37, 0xbf788fa5, v118
	v_add_f32_e32 v27, v27, v5
	v_add_f32_e32 v111, v11, v103
	v_sub_f32_e32 v112, v8, v15
	v_mul_f32_e32 v121, 0x3f29c268, v110
	v_mul_f32_e32 v122, 0x3eedf032, v110
	v_fmamk_f32 v147, v109, 0xbf788fa5, v119
	v_fmamk_f32 v148, v109, 0xbeb58ec6, v120
	v_add_f32_e32 v20, v123, v29
	v_add_f32_e32 v29, v33, v162
	;; [unrolled: 1-line block ×5, first 2 shown]
	v_sub_f32_e32 v114, v2, v0
	v_mul_f32_e32 v124, 0x3f7e222b, v112
	v_mul_f32_e32 v125, 0xbf52af12, v112
	;; [unrolled: 1-line block ×4, first 2 shown]
	v_fmamk_f32 v150, v111, 0xbf3f9e67, v121
	v_fmamk_f32 v151, v111, 0x3f62ad3f, v122
	v_add_f32_e32 v29, v147, v29
	v_add_f32_e32 v27, v27, v3
	;; [unrolled: 1-line block ×4, first 2 shown]
	v_mul_f32_e32 v126, 0x3eedf032, v114
	v_mul_f32_e32 v127, 0xbf29c268, v114
	;; [unrolled: 1-line block ×4, first 2 shown]
	v_fmamk_f32 v153, v113, 0x3df6dbef, v124
	v_fmamk_f32 v154, v113, 0x3f116cb1, v125
	;; [unrolled: 1-line block ×3, first 2 shown]
	v_add_f32_e32 v90, v123, v93
	v_add_f32_e32 v35, v123, v116
	v_add_f32_e32 v29, v150, v29
	v_add_f32_e32 v27, v27, v103
	v_add_f32_e32 v32, v151, v32
	v_add_f32_e32 v93, v123, v34
	v_fmamk_f32 v34, v37, 0x3df6dbef, v134
	v_mul_f32_e32 v116, 0xbf52af12, v108
	v_mul_f32_e32 v129, 0xbf7e222b, v108
	v_fmamk_f32 v146, v37, 0x3f116cb1, v128
	v_fmamk_f32 v156, v115, 0x3f62ad3f, v126
	v_fmamk_f32 v157, v115, 0xbf3f9e67, v127
	v_add_f32_e32 v40, v123, v91
	v_add_f32_e32 v96, v123, v140
	;; [unrolled: 1-line block ×12, first 2 shown]
	v_fmamk_f32 v136, v109, 0x3f62ad3f, v135
	v_mul_f32_e32 v140, 0xbf7e222b, v110
	v_add_f32_e32 v34, v34, v138
	v_fmamk_f32 v138, v109, 0x3f116cb1, v116
	v_mul_f32_e32 v141, 0x3e750f2a, v110
	v_mul_f32_e32 v130, 0xbf6f5d39, v110
	v_fmamk_f32 v149, v109, 0x3df6dbef, v129
	v_add_f32_e32 v33, v146, v160
	v_add_f32_e32 v29, v156, v29
	;; [unrolled: 1-line block ×5, first 2 shown]
	v_fmamk_f32 v136, v111, 0x3df6dbef, v140
	v_mul_f32_e32 v142, 0x3e750f2a, v112
	v_add_f32_e32 v34, v138, v34
	v_fmamk_f32 v138, v111, 0xbf788fa5, v141
	v_mul_f32_e32 v131, 0xbf29c268, v112
	v_fmamk_f32 v152, v111, 0xbeb58ec6, v130
	v_add_f32_e32 v33, v149, v33
	v_add_f32_e32 v27, v27, v137
	v_mul_f32_e32 v137, 0x3eedf032, v112
	v_add_f32_e32 v123, v136, v123
	v_fmamk_f32 v136, v113, 0xbf788fa5, v142
	v_add_f32_e32 v34, v138, v34
	v_mul_f32_e32 v138, 0x3f52af12, v114
	ds_write2_b32 v46, v29, v32 offset0:4 offset1:6
	v_mul_f32_e32 v29, 0x3eedf032, v36
	v_mul_f32_e32 v132, 0xbe750f2a, v114
	v_fmamk_f32 v155, v113, 0xbf3f9e67, v131
	v_add_f32_e32 v33, v152, v33
	v_fmamk_f32 v143, v113, 0x3f62ad3f, v137
	v_add_f32_e32 v32, v136, v123
	v_fmamk_f32 v36, v115, 0x3f116cb1, v138
	v_mul_f32_e32 v123, 0xbf6f5d39, v114
	v_fmamk_f32 v136, v37, 0x3f62ad3f, v29
	v_mul_f32_e32 v108, 0xbf29c268, v108
	v_fma_f32 v29, 0x3f62ad3f, v37, -v29
	v_fmamk_f32 v158, v115, 0xbf788fa5, v132
	v_add_f32_e32 v33, v155, v33
	v_add_f32_e32 v34, v143, v34
	;; [unrolled: 1-line block ×3, first 2 shown]
	v_fmamk_f32 v36, v115, 0xbeb58ec6, v123
	v_add_f32_e32 v136, v136, v139
	v_fmamk_f32 v139, v109, 0xbf3f9e67, v108
	v_mul_f32_e32 v110, 0x3f52af12, v110
	v_add_f32_e32 v26, v29, v26
	v_fma_f32 v29, 0xbf3f9e67, v109, -v108
	v_add_f32_e32 v33, v158, v33
	v_add_f32_e32 v34, v36, v34
	;; [unrolled: 1-line block ×3, first 2 shown]
	v_fmamk_f32 v108, v111, 0x3f116cb1, v110
	v_mul_f32_e32 v112, 0xbf6f5d39, v112
	v_add_f32_e32 v26, v29, v26
	v_fma_f32 v29, 0x3f116cb1, v111, -v110
	ds_write2_b32 v46, v27, v33 offset1:2
	v_add_f32_e32 v27, v108, v36
	v_fmamk_f32 v33, v113, 0xbeb58ec6, v112
	ds_write2_b32 v46, v32, v34 offset0:8 offset1:10
	v_add_f32_e32 v26, v29, v26
	v_fma_f32 v29, 0xbeb58ec6, v113, -v112
	v_fma_f32 v32, 0xbf3f9e67, v37, -v133
	v_add_f32_e32 v27, v33, v27
	v_mul_f32_e32 v33, 0x3f7e222b, v114
	v_fma_f32 v34, 0x3df6dbef, v37, -v134
	v_add_f32_e32 v26, v29, v26
	v_add_f32_e32 v29, v32, v165
	v_fma_f32 v32, 0x3f62ad3f, v109, -v135
	v_fmamk_f32 v36, v115, 0x3df6dbef, v33
	v_add_f32_e32 v34, v34, v166
	v_fma_f32 v108, 0x3f116cb1, v109, -v116
	v_fma_f32 v33, 0x3df6dbef, v115, -v33
	v_add_f32_e32 v29, v32, v29
	v_fma_f32 v32, 0x3df6dbef, v111, -v140
	v_add_f32_e32 v27, v36, v27
	v_add_f32_e32 v34, v108, v34
	v_fma_f32 v36, 0xbf788fa5, v111, -v141
	v_add_f32_e32 v26, v33, v26
	v_add_f32_e32 v29, v32, v29
	v_fma_f32 v32, 0xbf788fa5, v113, -v142
	v_fma_f32 v33, 0xbeb58ec6, v37, -v117
	v_add_f32_e32 v34, v36, v34
	v_fma_f32 v36, 0x3f62ad3f, v113, -v137
	v_fma_f32 v108, 0xbf788fa5, v37, -v118
	v_add_f32_e32 v29, v32, v29
	v_add_f32_e32 v32, v33, v163
	v_fma_f32 v33, 0xbf788fa5, v109, -v119
	v_add_f32_e32 v34, v36, v34
	v_add_f32_e32 v36, v108, v164
	v_fma_f32 v108, 0xbeb58ec6, v109, -v120
	v_fma_f32 v110, 0x3f116cb1, v115, -v138
	v_add_f32_e32 v32, v33, v32
	v_fma_f32 v33, 0xbf3f9e67, v111, -v121
	v_fma_f32 v112, 0xbeb58ec6, v115, -v123
	v_add_f32_e32 v36, v108, v36
	v_fma_f32 v108, 0x3f62ad3f, v111, -v122
	v_add_f32_e32 v29, v110, v29
	v_add_f32_e32 v32, v33, v32
	v_fma_f32 v33, 0x3df6dbef, v113, -v124
	v_add_f32_e32 v34, v112, v34
	v_add_f32_e32 v36, v108, v36
	v_fma_f32 v108, 0x3f116cb1, v113, -v125
	ds_write2_b32 v46, v27, v26 offset0:12 offset1:14
	v_add_f32_e32 v26, v33, v32
	v_fma_f32 v27, 0x3f62ad3f, v115, -v126
	v_sub_f32_e32 v32, v18, v43
	v_fma_f32 v33, 0x3f116cb1, v37, -v128
	ds_write2_b32 v46, v34, v29 offset0:16 offset1:18
	v_add_f32_e32 v29, v108, v36
	v_add_f32_e32 v26, v27, v26
	v_fma_f32 v27, 0xbf3f9e67, v115, -v127
	v_add_f32_e32 v34, v102, v101
	v_mul_f32_e32 v36, 0xbeedf032, v32
	v_add_f32_e32 v33, v33, v161
	v_sub_f32_e32 v37, v28, v42
	v_fma_f32 v108, 0x3df6dbef, v109, -v129
	v_add_f32_e32 v27, v27, v29
	v_fmamk_f32 v29, v34, 0x3f62ad3f, v36
	v_add_f32_e32 v109, v100, v99
	v_mul_f32_e32 v110, 0xbf52af12, v37
	v_add_f32_e32 v33, v108, v33
	v_fma_f32 v108, 0xbeb58ec6, v111, -v130
	v_sub_f32_e32 v111, v22, v38
	v_add_f32_e32 v114, v89, v102
	v_add_f32_e32 v29, v89, v29
	v_fmamk_f32 v112, v109, 0x3f116cb1, v110
	v_add_f32_e32 v116, v98, v60
	v_mul_f32_e32 v117, 0xbf7e222b, v111
	v_add_f32_e32 v33, v108, v33
	v_sub_f32_e32 v108, v31, v39
	v_add_f32_e32 v114, v114, v100
	v_add_f32_e32 v29, v112, v29
	v_fmamk_f32 v112, v116, 0x3df6dbef, v117
	v_add_f32_e32 v118, v58, v56
	v_mul_f32_e32 v119, 0xbf6f5d39, v108
	v_add_f32_e32 v114, v114, v98
	v_fma_f32 v113, 0xbf3f9e67, v113, -v131
	v_sub_f32_e32 v120, v30, v23
	v_add_f32_e32 v29, v112, v29
	v_fmamk_f32 v112, v118, 0xbeb58ec6, v119
	v_add_f32_e32 v114, v114, v58
	v_add_f32_e32 v121, v54, v52
	v_mul_f32_e32 v122, 0xbf29c268, v120
	v_add_f32_e32 v33, v113, v33
	v_sub_f32_e32 v113, v21, v19
	v_add_f32_e32 v114, v114, v54
	v_add_f32_e32 v29, v112, v29
	v_fmamk_f32 v112, v121, 0xbf3f9e67, v122
	v_add_f32_e32 v123, v50, v48
	v_mul_f32_e32 v124, 0xbe750f2a, v113
	v_fma_f32 v115, 0xbf788fa5, v115, -v132
	v_lshrrev_b32_e32 v125, 1, v72
	v_add_f32_e32 v114, v114, v50
	v_add_f32_e32 v29, v112, v29
	v_fmamk_f32 v112, v123, 0xbf788fa5, v124
	v_add_f32_e32 v33, v115, v33
	v_mul_lo_u32 v125, v125, 26
	v_add_f32_e32 v114, v114, v48
	ds_write2_b32 v46, v27, v26 offset0:20 offset1:22
	v_add_f32_e32 v27, v112, v29
	v_mul_f32_e32 v29, 0xbf52af12, v32
	ds_write_b32 v46, v33 offset:96
	v_mul_f32_e32 v33, 0xbf7e222b, v32
	v_add_f32_e32 v26, v114, v52
	v_or_b32_e32 v44, v125, v44
	v_fmamk_f32 v112, v34, 0x3f116cb1, v29
	v_mul_f32_e32 v114, 0xbf6f5d39, v37
	v_fmamk_f32 v115, v34, 0x3df6dbef, v33
	v_mul_f32_e32 v125, 0xbe750f2a, v37
	v_add_f32_e32 v26, v26, v56
	v_add_f32_e32 v112, v89, v112
	v_fmamk_f32 v126, v109, 0xbeb58ec6, v114
	v_add_f32_e32 v115, v89, v115
	v_fmamk_f32 v127, v109, 0xbf788fa5, v125
	v_mul_f32_e32 v128, 0xbe750f2a, v111
	v_mul_f32_e32 v129, 0x3f6f5d39, v111
	v_add_f32_e32 v26, v26, v60
	v_add_f32_e32 v112, v126, v112
	;; [unrolled: 1-line block ×3, first 2 shown]
	v_fmamk_f32 v126, v116, 0xbf788fa5, v128
	v_fmamk_f32 v127, v116, 0xbeb58ec6, v129
	v_mul_f32_e32 v130, 0x3f29c268, v108
	v_mul_f32_e32 v131, 0x3eedf032, v108
	v_add_f32_e32 v26, v26, v99
	v_add_f32_e32 v112, v126, v112
	;; [unrolled: 1-line block ×3, first 2 shown]
	v_fmamk_f32 v126, v118, 0xbf3f9e67, v130
	v_fmamk_f32 v127, v118, 0x3f62ad3f, v131
	v_mul_f32_e32 v133, 0x3f7e222b, v120
	v_mul_f32_e32 v134, 0xbf52af12, v120
	v_add_f32_e32 v132, v26, v101
	v_lshl_add_u32 v26, v44, 2, 0
	v_add_f32_e32 v44, v126, v112
	v_add_f32_e32 v112, v127, v115
	v_fmamk_f32 v115, v121, 0x3df6dbef, v133
	v_fmamk_f32 v126, v121, 0x3f116cb1, v134
	v_mul_f32_e32 v127, 0xbf6f5d39, v32
	v_mul_f32_e32 v135, 0x3eedf032, v113
	ds_write2_b32 v26, v132, v27 offset1:2
	v_add_f32_e32 v27, v115, v44
	v_add_f32_e32 v44, v126, v112
	v_fmamk_f32 v112, v34, 0xbeb58ec6, v127
	v_mul_f32_e32 v115, 0x3f29c268, v37
	v_mul_f32_e32 v126, 0xbf29c268, v32
	v_fmamk_f32 v132, v123, 0x3f62ad3f, v135
	v_mul_f32_e32 v139, 0x3f7e222b, v37
	v_add_f32_e32 v112, v89, v112
	v_fmamk_f32 v137, v109, 0xbf3f9e67, v115
	v_fmamk_f32 v138, v34, 0xbf3f9e67, v126
	v_mul_f32_e32 v136, 0xbf29c268, v113
	v_add_f32_e32 v27, v132, v27
	v_mul_f32_e32 v141, 0xbf52af12, v111
	v_add_f32_e32 v112, v137, v112
	v_add_f32_e32 v132, v89, v138
	v_fmamk_f32 v137, v109, 0x3df6dbef, v139
	v_mul_f32_e32 v140, 0x3eedf032, v111
	v_fmamk_f32 v143, v123, 0xbf3f9e67, v136
	v_mul_f32_e32 v144, 0x3e750f2a, v108
	v_mul_f32_e32 v142, 0xbf7e222b, v108
	v_add_f32_e32 v132, v137, v132
	v_fmamk_f32 v137, v116, 0x3f116cb1, v141
	v_fmamk_f32 v138, v116, 0x3f62ad3f, v140
	v_add_f32_e32 v44, v143, v44
	v_mul_f32_e32 v32, 0xbe750f2a, v32
	v_mul_f32_e32 v145, 0x3e750f2a, v120
	v_add_f32_e32 v132, v137, v132
	v_fmamk_f32 v137, v118, 0xbf788fa5, v144
	v_add_f32_e32 v112, v138, v112
	v_fmamk_f32 v138, v118, 0x3df6dbef, v142
	ds_write2_b32 v26, v27, v44 offset0:4 offset1:6
	v_mul_f32_e32 v27, 0x3eedf032, v120
	v_add_f32_e32 v44, v137, v132
	v_fmamk_f32 v132, v34, 0xbf788fa5, v32
	v_mul_f32_e32 v37, 0x3eedf032, v37
	v_fma_f32 v32, 0xbf788fa5, v34, -v32
	v_add_f32_e32 v112, v138, v112
	v_fmamk_f32 v138, v121, 0xbf788fa5, v145
	v_fmamk_f32 v137, v121, 0x3f62ad3f, v27
	v_add_f32_e32 v132, v89, v132
	v_fmamk_f32 v143, v109, 0x3f62ad3f, v37
	v_add_f32_e32 v32, v89, v32
	v_fma_f32 v37, 0x3f62ad3f, v109, -v37
	v_mul_f32_e32 v111, 0xbf29c268, v111
	v_add_f32_e32 v112, v138, v112
	v_mul_f32_e32 v138, 0x3f52af12, v113
	v_add_f32_e32 v44, v137, v44
	;; [unrolled: 2-line block ×3, first 2 shown]
	v_add_f32_e32 v32, v37, v32
	v_fmamk_f32 v37, v116, 0xbf3f9e67, v111
	v_fma_f32 v111, 0xbf3f9e67, v116, -v111
	v_mul_f32_e32 v108, 0x3f52af12, v108
	v_fmamk_f32 v143, v123, 0x3f116cb1, v138
	v_fmamk_f32 v146, v123, 0xbeb58ec6, v137
	v_add_f32_e32 v37, v37, v132
	v_add_f32_e32 v32, v111, v32
	v_fmamk_f32 v111, v118, 0x3f116cb1, v108
	v_mul_f32_e32 v120, 0xbf6f5d39, v120
	v_fma_f32 v108, 0x3f116cb1, v118, -v108
	v_add_f32_e32 v112, v143, v112
	v_add_f32_e32 v44, v146, v44
	;; [unrolled: 1-line block ×3, first 2 shown]
	v_fmamk_f32 v111, v121, 0xbeb58ec6, v120
	v_add_f32_e32 v32, v108, v32
	v_fma_f32 v108, 0xbeb58ec6, v121, -v120
	ds_write2_b32 v26, v112, v44 offset0:8 offset1:10
	v_mul_f32_e32 v44, 0x3f7e222b, v113
	v_add_f32_e32 v37, v111, v37
	v_fma_f32 v111, 0xbeb58ec6, v34, -v127
	v_add_f32_e32 v32, v108, v32
	v_fma_f32 v108, 0xbf3f9e67, v34, -v126
	v_fmamk_f32 v112, v123, 0x3df6dbef, v44
	v_fma_f32 v44, 0x3df6dbef, v123, -v44
	v_add_f32_e32 v111, v89, v111
	v_fma_f32 v113, 0xbf3f9e67, v109, -v115
	v_add_f32_e32 v108, v89, v108
	;; [unrolled: 2-line block ×3, first 2 shown]
	v_add_f32_e32 v32, v44, v32
	v_add_f32_e32 v44, v113, v111
	v_fma_f32 v111, 0x3f62ad3f, v116, -v140
	v_add_f32_e32 v108, v115, v108
	v_fma_f32 v112, 0x3f116cb1, v116, -v141
	v_fma_f32 v29, 0x3f116cb1, v34, -v29
	v_add_f32_e32 v16, v16, v14
	ds_write2_b32 v26, v37, v32 offset0:12 offset1:14
	v_add_f32_e32 v32, v111, v44
	v_fma_f32 v37, 0x3df6dbef, v118, -v142
	v_add_f32_e32 v44, v112, v108
	v_add_f32_e32 v29, v89, v29
	v_fma_f32 v108, 0xbeb58ec6, v109, -v114
	v_fma_f32 v33, 0x3df6dbef, v34, -v33
	v_add_f32_e32 v16, v16, v12
	v_add_f32_e32 v32, v37, v32
	v_fma_f32 v37, 0xbf788fa5, v118, -v144
	v_add_f32_e32 v29, v108, v29
	v_add_f32_e32 v33, v89, v33
	;; [unrolled: 3-line block ×3, first 2 shown]
	v_fma_f32 v44, 0xbeb58ec6, v116, -v129
	v_fma_f32 v34, 0x3f62ad3f, v34, -v36
	v_add_f32_e32 v33, v108, v33
	v_add_f32_e32 v16, v16, v8
	v_fma_f32 v112, 0xbf788fa5, v116, -v128
	v_sub_f32_e32 v104, v13, v104
	v_fma_f32 v13, 0x3df6dbef, v116, -v117
	v_add_f32_e32 v33, v44, v33
	v_fma_f32 v44, 0x3f62ad3f, v118, -v131
	v_add_f32_e32 v16, v16, v2
	v_add_f32_e32 v29, v112, v29
	v_sub_f32_e32 v112, v7, v3
	v_fma_f32 v111, 0xbf788fa5, v121, -v145
	v_add_f32_e32 v33, v44, v33
	v_fma_f32 v44, 0x3f116cb1, v121, -v134
	v_add_f32_e32 v16, v16, v0
	v_sub_f32_e32 v103, v11, v103
	v_fma_f32 v11, 0xbf3f9e67, v121, -v122
	v_add_f32_e32 v32, v111, v32
	v_add_f32_e32 v33, v44, v33
	;; [unrolled: 1-line block ×4, first 2 shown]
	v_sub_f32_e32 v89, v106, v105
	v_add_f32_e32 v106, v12, v6
	v_add_f32_e32 v12, v16, v15
	v_fma_f32 v34, 0x3f116cb1, v109, -v110
	v_mul_f32_e32 v120, 0xbf788fa5, v44
	v_add_f32_e32 v109, v10, v17
	v_mul_f32_e32 v122, 0xbeb58ec6, v106
	v_add_f32_e32 v12, v12, v17
	v_add_f32_e32 v14, v34, v14
	;; [unrolled: 1-line block ×3, first 2 shown]
	v_sub_f32_e32 v115, v5, v1
	v_fma_f32 v1, 0xbf788fa5, v123, -v124
	v_add_f32_e32 v3, v12, v6
	v_add_f32_e32 v13, v13, v14
	v_fma_f32 v14, 0xbeb58ec6, v118, -v119
	v_fmamk_f32 v124, v104, 0xbf6f5d39, v122
	v_mul_f32_e32 v126, 0x3f62ad3f, v109
	v_add_f32_e32 v3, v3, v4
	v_fma_f32 v108, 0xbf3f9e67, v118, -v130
	v_fma_f32 v27, 0x3f62ad3f, v121, -v27
	v_add_f32_e32 v8, v14, v13
	v_mul_f32_e32 v119, 0xbeb58ec6, v44
	v_add_f32_e32 v117, v3, v9
	v_fmamk_f32 v9, v89, 0x3e750f2a, v120
	v_mul_f32_e32 v128, 0x3f116cb1, v111
	v_add_f32_e32 v29, v108, v29
	v_fma_f32 v108, 0x3df6dbef, v121, -v133
	v_add_f32_e32 v27, v27, v37
	v_add_f32_e32 v107, v9, v107
	v_fma_f32 v37, 0x3f116cb1, v123, -v138
	v_add_f32_e32 v114, v2, v0
	v_add_f32_e32 v2, v11, v8
	v_fmamk_f32 v8, v89, 0x3f6f5d39, v119
	v_add_f32_e32 v107, v124, v107
	v_fmamk_f32 v124, v103, 0xbeedf032, v126
	v_mul_f32_e32 v121, 0xbf788fa5, v106
	v_mul_f32_e32 v129, 0xbf3f9e67, v44
	;; [unrolled: 1-line block ×3, first 2 shown]
	v_add_f32_e32 v29, v108, v29
	v_add_f32_e32 v107, v124, v107
	v_fmamk_f32 v124, v112, 0x3f52af12, v128
	v_fma_f32 v108, 0x3f62ad3f, v123, -v135
	v_mul_f32_e32 v105, 0x3f116cb1, v44
	v_add_f32_e32 v32, v37, v32
	v_fma_f32 v37, 0xbeb58ec6, v123, -v137
	v_fma_f32 v36, 0xbf3f9e67, v123, -v136
	v_add_f32_e32 v96, v8, v96
	v_fmamk_f32 v123, v104, 0x3e750f2a, v121
	v_mul_f32_e32 v125, 0xbf3f9e67, v109
	v_add_f32_e32 v107, v124, v107
	v_fmamk_f32 v124, v89, 0xbf29c268, v129
	v_fmamk_f32 v131, v89, 0xbf7e222b, v130
	v_mul_f32_e32 v132, 0x3f62ad3f, v106
	v_mul_f32_e32 v133, 0x3f116cb1, v106
	;; [unrolled: 1-line block ×3, first 2 shown]
	v_add_f32_e32 v29, v108, v29
	v_fmamk_f32 v16, v89, 0x3f52af12, v105
	v_mul_f32_e32 v108, 0x3df6dbef, v106
	v_add_f32_e32 v96, v123, v96
	v_fmamk_f32 v123, v103, 0xbf29c268, v125
	v_mul_f32_e32 v127, 0x3df6dbef, v111
	v_add_f32_e32 v94, v124, v94
	v_add_f32_e32 v95, v131, v95
	v_fmamk_f32 v124, v104, 0xbeedf032, v132
	v_fmamk_f32 v131, v104, 0x3f52af12, v133
	v_mul_f32_e32 v135, 0x3df6dbef, v109
	v_mul_f32_e32 v136, 0xbf788fa5, v109
	v_fmamk_f32 v138, v89, 0xbeedf032, v44
	v_fmac_f32_e32 v44, 0x3eedf032, v89
	v_mul_f32_e32 v106, 0xbf3f9e67, v106
	v_add_f32_e32 v16, v16, v20
	v_fmamk_f32 v10, v104, 0x3f7e222b, v108
	v_mul_f32_e32 v110, 0xbeb58ec6, v109
	v_add_f32_e32 v96, v123, v96
	v_fmamk_f32 v123, v112, 0xbf7e222b, v127
	v_add_f32_e32 v94, v124, v94
	v_add_f32_e32 v95, v131, v95
	v_fmamk_f32 v124, v103, 0x3f7e222b, v135
	v_fmamk_f32 v131, v103, 0xbe750f2a, v136
	v_add_f32_e32 v92, v138, v92
	v_add_f32_e32 v44, v44, v93
	v_fmamk_f32 v93, v104, 0x3f29c268, v106
	v_fmac_f32_e32 v106, 0xbf29c268, v104
	v_mul_f32_e32 v109, 0x3f116cb1, v109
	v_add_f32_e32 v10, v10, v16
	v_fmamk_f32 v13, v103, 0x3f6f5d39, v110
	v_mul_f32_e32 v113, 0xbf3f9e67, v111
	v_add_f32_e32 v96, v123, v96
	v_mul_f32_e32 v123, 0x3f62ad3f, v114
	v_add_f32_e32 v94, v124, v94
	v_add_f32_e32 v95, v131, v95
	v_mul_f32_e32 v124, 0xbf788fa5, v111
	v_mul_f32_e32 v131, 0x3f62ad3f, v111
	v_add_f32_e32 v92, v93, v92
	v_add_f32_e32 v44, v106, v44
	v_fmamk_f32 v93, v103, 0xbf52af12, v109
	v_fmac_f32_e32 v109, 0x3f52af12, v103
	v_mul_f32_e32 v106, 0xbeb58ec6, v111
	v_add_f32_e32 v0, v13, v10
	v_fmamk_f32 v6, v112, 0x3f29c268, v113
	v_mul_f32_e32 v116, 0xbf788fa5, v114
	v_fmamk_f32 v134, v115, 0xbeedf032, v123
	v_mul_f32_e32 v137, 0xbf3f9e67, v114
	v_fmamk_f32 v139, v112, 0xbe750f2a, v124
	v_fmamk_f32 v140, v112, 0xbeedf032, v131
	v_mul_f32_e32 v111, 0x3f116cb1, v114
	v_mul_f32_e32 v138, 0xbeb58ec6, v114
	v_add_f32_e32 v92, v93, v92
	v_add_f32_e32 v44, v109, v44
	v_fmamk_f32 v93, v112, 0x3f6f5d39, v106
	v_fmac_f32_e32 v106, 0xbf6f5d39, v112
	v_mul_f32_e32 v109, 0x3df6dbef, v114
	v_add_f32_e32 v0, v6, v0
	v_fmamk_f32 v4, v115, 0x3e750f2a, v116
	v_add_f32_e32 v96, v134, v96
	v_fmamk_f32 v134, v115, 0x3f29c268, v137
	v_add_f32_e32 v94, v139, v94
	v_add_f32_e32 v95, v140, v95
	v_fmamk_f32 v114, v115, 0xbf52af12, v111
	v_fmamk_f32 v139, v115, 0x3f6f5d39, v138
	v_add_f32_e32 v92, v93, v92
	v_add_f32_e32 v44, v106, v44
	v_fmamk_f32 v93, v115, 0xbf7e222b, v109
	v_fmac_f32_e32 v109, 0x3f7e222b, v115
	v_add_f32_e32 v27, v37, v27
	v_add_f32_e32 v1, v1, v2
	;; [unrolled: 1-line block ×3, first 2 shown]
	v_fmac_f32_e32 v120, 0xbe750f2a, v89
	v_add_f32_e32 v5, v36, v33
	v_add_f32_e32 v106, v134, v107
	;; [unrolled: 1-line block ×6, first 2 shown]
	ds_write2_b32 v26, v27, v32 offset0:16 offset1:18
	ds_write2_b32 v26, v5, v29 offset0:20 offset1:22
	ds_write_b32 v26, v1 offset:96
	s_waitcnt lgkmcnt(0)
	s_barrier
	buffer_gl0_inv
	ds_read_b32 v34, v86
	ds_read_b32 v32, v87
	ds_read_b32 v29, v88
	ds_read_b32 v27, v85
	ds_read_b32 v36, v83
	ds_read_b32 v37, v82
	ds_read_b32 v20, v57
	ds_read_b32 v33, v45 offset:5200
	ds_read2_b32 v[0:1], v45 offset1:156
	ds_read2_b32 v[4:5], v49 offset0:164 offset1:216
	ds_read2_b32 v[6:7], v53 offset0:12 offset1:64
	;; [unrolled: 1-line block ×8, first 2 shown]
	s_waitcnt lgkmcnt(0)
	s_barrier
	buffer_gl0_inv
	ds_write2_b32 v46, v117, v118 offset1:2
	ds_write2_b32 v46, v96, v106 offset0:4 offset1:6
	ds_write2_b32 v46, v94, v95 offset0:8 offset1:10
	;; [unrolled: 1-line block ×3, first 2 shown]
	v_add_f32_e32 v44, v120, v90
	v_add_f32_e32 v90, v97, v18
	v_fmac_f32_e32 v105, 0xbf52af12, v89
	v_fmac_f32_e32 v108, 0xbf7e222b, v104
	;; [unrolled: 1-line block ×4, first 2 shown]
	v_add_f32_e32 v90, v90, v28
	v_add_f32_e32 v40, v105, v40
	v_fmac_f32_e32 v129, 0x3f29c268, v89
	v_fmac_f32_e32 v116, 0xbe750f2a, v115
	v_add_f32_e32 v18, v18, v43
	v_add_f32_e32 v90, v90, v22
	;; [unrolled: 1-line block ×3, first 2 shown]
	v_fmac_f32_e32 v119, 0xbf6f5d39, v89
	v_fmac_f32_e32 v130, 0x3f7e222b, v89
	v_add_f32_e32 v89, v129, v91
	v_add_f32_e32 v90, v90, v31
	;; [unrolled: 1-line block ×3, first 2 shown]
	v_mul_f32_e32 v93, 0x3f116cb1, v18
	v_mul_f32_e32 v92, 0x3f62ad3f, v18
	;; [unrolled: 1-line block ×3, first 2 shown]
	v_add_f32_e32 v90, v90, v30
	v_add_f32_e32 v40, v113, v40
	;; [unrolled: 1-line block ×3, first 2 shown]
	v_fmac_f32_e32 v121, 0xbe750f2a, v104
	v_fmac_f32_e32 v122, 0x3f6f5d39, v104
	v_add_f32_e32 v90, v90, v21
	v_add_f32_e32 v91, v116, v40
	v_fmac_f32_e32 v132, 0x3eedf032, v104
	v_fmac_f32_e32 v133, 0xbf52af12, v104
	;; [unrolled: 1-line block ×3, first 2 shown]
	v_add_f32_e32 v90, v90, v19
	v_fmac_f32_e32 v126, 0x3eedf032, v103
	v_fmac_f32_e32 v135, 0xbf7e222b, v103
	;; [unrolled: 1-line block ×3, first 2 shown]
	v_add_f32_e32 v22, v22, v38
	v_add_f32_e32 v90, v90, v23
	v_sub_f32_e32 v60, v98, v60
	v_add_f32_e32 v31, v31, v39
	v_sub_f32_e32 v56, v58, v56
	v_mul_f32_e32 v98, 0x3df6dbef, v22
	v_add_f32_e32 v90, v90, v39
	v_add_f32_e32 v23, v30, v23
	v_mul_f32_e32 v58, 0xbeb58ec6, v31
	v_mul_f32_e32 v30, 0x3f116cb1, v31
	v_sub_f32_e32 v52, v54, v52
	v_add_f32_e32 v90, v90, v38
	v_mul_f32_e32 v54, 0xbf3f9e67, v23
	v_add_f32_e32 v19, v21, v19
	v_mul_f32_e32 v21, 0xbeb58ec6, v23
	v_sub_f32_e32 v48, v50, v48
	v_add_f32_e32 v40, v90, v42
	v_sub_f32_e32 v90, v102, v101
	v_mul_f32_e32 v102, 0xbf3f9e67, v18
	v_mul_f32_e32 v50, 0xbf788fa5, v19
	v_add_f32_e32 v41, v119, v41
	v_add_f32_e32 v94, v40, v43
	v_mul_f32_e32 v43, 0x3df6dbef, v18
	v_fmamk_f32 v95, v90, 0x3f52af12, v93
	v_mul_f32_e32 v18, 0xbf788fa5, v18
	v_fmamk_f32 v40, v90, 0x3eedf032, v92
	v_fmac_f32_e32 v92, 0xbeedf032, v90
	v_fmac_f32_e32 v93, 0xbf52af12, v90
	v_fmamk_f32 v101, v90, 0x3f7e222b, v43
	v_fmac_f32_e32 v43, 0xbf7e222b, v90
	v_fmamk_f32 v103, v90, 0x3f6f5d39, v96
	v_fmac_f32_e32 v96, 0xbf6f5d39, v90
	v_fmamk_f32 v104, v90, 0x3f29c268, v102
	v_fmac_f32_e32 v102, 0xbf29c268, v90
	v_fmamk_f32 v105, v90, 0x3e750f2a, v18
	v_fmac_f32_e32 v18, 0xbe750f2a, v90
	v_add_f32_e32 v90, v97, v95
	v_sub_f32_e32 v95, v100, v99
	v_mul_f32_e32 v99, 0x3f116cb1, v28
	v_add_f32_e32 v40, v97, v40
	v_add_f32_e32 v42, v97, v92
	;; [unrolled: 1-line block ×6, first 2 shown]
	v_fmamk_f32 v103, v95, 0x3f52af12, v99
	v_mul_f32_e32 v104, 0xbeb58ec6, v28
	v_add_f32_e32 v43, v97, v43
	v_add_f32_e32 v96, v97, v96
	;; [unrolled: 1-line block ×6, first 2 shown]
	v_fmamk_f32 v97, v95, 0x3f6f5d39, v104
	v_mul_f32_e32 v103, 0xbf788fa5, v28
	v_fmac_f32_e32 v99, 0xbf52af12, v95
	v_fmac_f32_e32 v104, 0xbf6f5d39, v95
	v_add_f32_e32 v35, v130, v35
	v_add_f32_e32 v90, v97, v90
	v_fmamk_f32 v97, v95, 0x3e750f2a, v103
	v_add_f32_e32 v42, v99, v42
	v_mul_f32_e32 v99, 0xbf3f9e67, v28
	v_add_f32_e32 v92, v104, v92
	v_fmac_f32_e32 v103, 0xbe750f2a, v95
	v_add_f32_e32 v93, v97, v93
	v_mul_f32_e32 v97, 0x3df6dbef, v28
	v_fmamk_f32 v104, v95, 0xbf29c268, v99
	v_fmac_f32_e32 v99, 0x3f29c268, v95
	v_mul_f32_e32 v28, 0x3f62ad3f, v28
	v_add_f32_e32 v43, v103, v43
	v_fmamk_f32 v38, v95, 0xbf7e222b, v97
	v_fmac_f32_e32 v97, 0x3f7e222b, v95
	v_add_f32_e32 v96, v99, v96
	v_fmamk_f32 v99, v95, 0xbeedf032, v28
	v_fmac_f32_e32 v28, 0x3eedf032, v95
	v_add_f32_e32 v38, v38, v101
	v_add_f32_e32 v95, v97, v102
	v_fmamk_f32 v97, v60, 0x3f7e222b, v98
	v_mul_f32_e32 v101, 0xbf788fa5, v22
	v_add_f32_e32 v18, v28, v18
	v_fmac_f32_e32 v98, 0xbf7e222b, v60
	v_add_f32_e32 v100, v104, v100
	v_add_f32_e32 v28, v97, v40
	v_fmamk_f32 v40, v60, 0x3e750f2a, v101
	v_mul_f32_e32 v97, 0xbeb58ec6, v22
	v_add_f32_e32 v42, v98, v42
	v_fmac_f32_e32 v101, 0xbe750f2a, v60
	v_mul_f32_e32 v98, 0x3f62ad3f, v22
	v_add_f32_e32 v40, v40, v90
	v_fmamk_f32 v90, v60, 0xbf6f5d39, v97
	v_fmac_f32_e32 v97, 0x3f6f5d39, v60
	v_add_f32_e32 v92, v101, v92
	v_fmamk_f32 v101, v60, 0xbeedf032, v98
	v_fmac_f32_e32 v98, 0x3eedf032, v60
	v_add_f32_e32 v90, v90, v93
	v_mul_f32_e32 v93, 0x3f116cb1, v22
	v_mul_f32_e32 v22, 0xbf3f9e67, v22
	v_add_f32_e32 v43, v97, v43
	v_add_f32_e32 v96, v98, v96
	v_add_f32_e32 v97, v101, v100
	v_fmamk_f32 v39, v60, 0x3f52af12, v93
	v_fmac_f32_e32 v93, 0xbf52af12, v60
	v_fmamk_f32 v98, v60, 0x3f29c268, v22
	v_fmac_f32_e32 v22, 0xbf29c268, v60
	v_fmamk_f32 v60, v56, 0x3f6f5d39, v58
	v_add_f32_e32 v38, v39, v38
	v_add_f32_e32 v39, v93, v95
	v_mul_f32_e32 v93, 0xbf3f9e67, v31
	v_add_f32_e32 v18, v22, v18
	v_add_f32_e32 v22, v60, v28
	v_mul_f32_e32 v60, 0x3f62ad3f, v31
	v_fmac_f32_e32 v58, 0xbf6f5d39, v56
	v_fmamk_f32 v28, v56, 0xbf29c268, v93
	v_fmac_f32_e32 v93, 0x3f29c268, v56
	v_add_f32_e32 v41, v121, v41
	v_add_f32_e32 v44, v122, v44
	;; [unrolled: 1-line block ×4, first 2 shown]
	v_fmamk_f32 v40, v56, 0xbeedf032, v60
	v_fmac_f32_e32 v60, 0x3eedf032, v56
	v_mul_f32_e32 v58, 0x3df6dbef, v31
	v_add_f32_e32 v92, v93, v92
	v_add_f32_e32 v89, v132, v89
	;; [unrolled: 1-line block ×4, first 2 shown]
	v_mul_f32_e32 v60, 0xbf788fa5, v31
	v_fmamk_f32 v93, v56, 0x3f7e222b, v58
	v_fmac_f32_e32 v58, 0xbf7e222b, v56
	v_add_f32_e32 v35, v133, v35
	v_add_f32_e32 v99, v99, v105
	v_fmamk_f32 v31, v56, 0xbe750f2a, v60
	v_fmac_f32_e32 v60, 0x3e750f2a, v56
	v_add_f32_e32 v90, v93, v97
	v_fmamk_f32 v93, v56, 0xbf52af12, v30
	v_fmac_f32_e32 v30, 0x3f52af12, v56
	v_add_f32_e32 v31, v31, v38
	v_add_f32_e32 v38, v60, v39
	v_fmamk_f32 v39, v52, 0x3f29c268, v54
	v_mul_f32_e32 v56, 0x3df6dbef, v23
	v_add_f32_e32 v18, v30, v18
	v_fmac_f32_e32 v54, 0xbf29c268, v52
	v_add_f32_e32 v58, v58, v96
	v_add_f32_e32 v22, v39, v22
	v_fmamk_f32 v30, v52, 0xbf7e222b, v56
	v_mul_f32_e32 v39, 0x3f116cb1, v23
	v_add_f32_e32 v42, v54, v42
	v_fmac_f32_e32 v56, 0x3f7e222b, v52
	v_mul_f32_e32 v54, 0xbf788fa5, v23
	v_add_f32_e32 v28, v30, v28
	v_fmamk_f32 v30, v52, 0x3f52af12, v39
	v_fmac_f32_e32 v39, 0xbf52af12, v52
	v_add_f32_e32 v56, v56, v92
	v_fmamk_f32 v92, v52, 0xbe750f2a, v54
	v_fmac_f32_e32 v54, 0x3e750f2a, v52
	v_add_f32_e32 v30, v30, v40
	v_mul_f32_e32 v40, 0x3f62ad3f, v23
	v_add_f32_e32 v39, v39, v43
	v_add_f32_e32 v43, v92, v90
	;; [unrolled: 1-line block ×3, first 2 shown]
	v_fmamk_f32 v58, v52, 0x3f6f5d39, v21
	v_fmamk_f32 v23, v52, 0xbeedf032, v40
	v_fmac_f32_e32 v40, 0x3eedf032, v52
	v_fmac_f32_e32 v21, 0xbf6f5d39, v52
	v_add_f32_e32 v41, v125, v41
	v_add_f32_e32 v44, v126, v44
	;; [unrolled: 1-line block ×4, first 2 shown]
	v_fmamk_f32 v38, v48, 0x3e750f2a, v50
	v_mul_f32_e32 v40, 0x3f62ad3f, v19
	v_add_f32_e32 v18, v21, v18
	v_fmac_f32_e32 v50, 0xbe750f2a, v48
	v_add_f32_e32 v89, v135, v89
	v_add_f32_e32 v21, v38, v22
	v_fmamk_f32 v22, v48, 0xbeedf032, v40
	v_mul_f32_e32 v38, 0xbf3f9e67, v19
	v_fmac_f32_e32 v40, 0x3eedf032, v48
	v_add_f32_e32 v42, v50, v42
	v_mul_f32_e32 v50, 0x3f116cb1, v19
	v_add_f32_e32 v22, v22, v28
	v_fmamk_f32 v28, v48, 0x3f29c268, v38
	v_add_f32_e32 v56, v40, v56
	v_fmac_f32_e32 v38, 0xbf29c268, v48
	v_fmamk_f32 v40, v48, 0xbf52af12, v50
	v_fmac_f32_e32 v50, 0x3f52af12, v48
	v_add_f32_e32 v28, v28, v30
	v_mul_f32_e32 v30, 0xbeb58ec6, v19
	v_add_f32_e32 v38, v38, v39
	v_add_f32_e32 v39, v40, v43
	v_mul_f32_e32 v19, 0x3df6dbef, v19
	v_subrev_nc_u32_e32 v40, 26, v61
	v_fmamk_f32 v43, v48, 0x3f6f5d39, v30
	v_add_f32_e32 v50, v50, v54
	v_add_f32_e32 v35, v136, v35
	v_fmamk_f32 v54, v48, 0xbf7e222b, v19
	v_fmac_f32_e32 v19, 0x3f7e222b, v48
	v_add_f32_e32 v23, v43, v23
	v_cndmask_b32_e64 v43, v40, v61, s0
	v_fmac_f32_e32 v127, 0x3f7e222b, v112
	v_fmac_f32_e32 v128, 0xbf52af12, v112
	;; [unrolled: 1-line block ×4, first 2 shown]
	v_add_f32_e32 v95, v98, v99
	v_fmac_f32_e32 v30, 0xbf6f5d39, v48
	v_add_f32_e32 v48, v19, v18
	v_mul_i32_i24_e32 v18, 12, v43
	v_mov_b32_e32 v19, 0
	v_add_f32_e32 v41, v127, v41
	v_add_f32_e32 v44, v128, v44
	v_add_f32_e32 v89, v124, v89
	v_add_f32_e32 v35, v131, v35
	v_fmac_f32_e32 v123, 0x3eedf032, v115
	v_fmac_f32_e32 v137, 0xbf29c268, v115
	;; [unrolled: 1-line block ×4, first 2 shown]
	v_add_f32_e32 v60, v93, v95
	v_lshlrev_b64 v[18:19], 3, v[18:19]
	v_add_f32_e32 v41, v123, v41
	v_add_f32_e32 v44, v137, v44
	;; [unrolled: 1-line block ×5, first 2 shown]
	v_add_co_u32 v18, s1, s8, v18
	v_add_co_ci_u32_e64 v19, s1, s9, v19, s1
	ds_write2_b32 v46, v35, v89 offset0:16 offset1:18
	ds_write2_b32 v46, v44, v41 offset0:20 offset1:22
	ds_write_b32 v46, v91 offset:96
	ds_write2_b32 v26, v94, v21 offset1:2
	ds_write2_b32 v26, v22, v28 offset0:4 offset1:6
	v_and_b32_e32 v21, 0xff, v72
	v_add_f32_e32 v30, v30, v31
	v_add_f32_e32 v31, v54, v52
	ds_write2_b32 v26, v39, v23 offset0:8 offset1:10
	ds_write2_b32 v26, v31, v48 offset0:12 offset1:14
	;; [unrolled: 1-line block ×4, first 2 shown]
	v_mul_lo_u16 v21, 0x4f, v21
	ds_write_b32 v26, v42 offset:96
	s_waitcnt lgkmcnt(0)
	s_barrier
	buffer_gl0_inv
	s_clause 0x1
	global_load_dwordx4 v[89:92], v[18:19], off offset:192
	global_load_dwordx4 v[93:96], v[18:19], off offset:208
	v_lshrrev_b16 v41, 11, v21
	global_load_dwordx4 v[102:105], v[18:19], off offset:224
	v_cmp_lt_u32_e64 s1, 25, v61
	v_lshlrev_b32_e32 v43, 2, v43
	v_mul_lo_u16 v21, v41, 26
	v_sub_nc_u16 v42, v72, v21
	v_mov_b32_e32 v21, 12
	v_mul_u32_u24_sdwa v21, v42, v21 dst_sel:DWORD dst_unused:UNUSED_PAD src0_sel:BYTE_0 src1_sel:DWORD
	v_lshlrev_b32_e32 v21, 3, v21
	s_clause 0x8
	global_load_dwordx4 v[111:114], v21, s[8:9] offset:272
	global_load_dwordx4 v[115:118], v[18:19], off offset:272
	global_load_dwordx4 v[119:122], v21, s[8:9] offset:256
	global_load_dwordx4 v[123:126], v[18:19], off offset:256
	;; [unrolled: 2-line block ×3, first 2 shown]
	global_load_dwordx4 v[135:138], v21, s[8:9] offset:224
	global_load_dwordx4 v[139:142], v21, s[8:9] offset:208
	;; [unrolled: 1-line block ×3, first 2 shown]
	ds_read_b32 v21, v82
	ds_read_b32 v22, v83
	;; [unrolled: 1-line block ×7, first 2 shown]
	ds_read_b32 v39, v45 offset:5200
	ds_read2_b32 v[18:19], v55 offset0:172 offset1:224
	s_waitcnt vmcnt(11) lgkmcnt(8)
	v_mul_f32_e32 v108, v21, v90
	v_mul_f32_e32 v31, v37, v90
	s_waitcnt lgkmcnt(7)
	v_mul_f32_e32 v106, v22, v92
	s_waitcnt vmcnt(10)
	v_mul_f32_e32 v38, v34, v94
	s_waitcnt lgkmcnt(6)
	v_mul_f32_e32 v98, v23, v94
	v_fmac_f32_e32 v108, v37, v89
	v_mul_f32_e32 v37, v36, v92
	v_fma_f32 v110, v21, v89, -v31
	s_waitcnt vmcnt(9) lgkmcnt(4)
	v_mul_f32_e32 v89, v28, v103
	v_mul_f32_e32 v31, v29, v103
	v_fma_f32 v101, v23, v93, -v38
	v_fma_f32 v107, v22, v91, -v37
	ds_read2_b32 v[21:22], v55 offset0:68 offset1:120
	v_mul_f32_e32 v94, v26, v96
	v_mul_f32_e32 v23, v32, v96
	s_waitcnt lgkmcnt(4)
	v_mul_f32_e32 v56, v30, v105
	v_fmac_f32_e32 v89, v29, v102
	v_fma_f32 v90, v28, v102, -v31
	v_fmac_f32_e32 v94, v32, v95
	v_fma_f32 v95, v26, v95, -v23
	s_waitcnt vmcnt(8)
	v_mul_f32_e32 v28, v33, v114
	v_mul_f32_e32 v29, v16, v112
	;; [unrolled: 1-line block ×3, first 2 shown]
	v_fmac_f32_e32 v56, v27, v104
	s_waitcnt lgkmcnt(2)
	v_mul_f32_e32 v52, v39, v114
	ds_read2_b32 v[26:27], v59 offset0:92 offset1:144
	v_fma_f32 v50, v39, v113, -v28
	s_waitcnt lgkmcnt(2)
	v_fma_f32 v39, v18, v111, -v29
	ds_read2_b32 v[28:29], v53 offset0:116 offset1:168
	v_mul_f32_e32 v38, v18, v112
	v_fmac_f32_e32 v52, v33, v113
	s_waitcnt vmcnt(7)
	v_mul_f32_e32 v18, v15, v116
	s_waitcnt lgkmcnt(2)
	v_mul_f32_e32 v109, v22, v116
	s_waitcnt vmcnt(6)
	v_mul_f32_e32 v33, v21, v122
	v_fmac_f32_e32 v38, v16, v111
	v_mul_f32_e32 v16, v17, v118
	v_fma_f32 v105, v22, v115, -v18
	v_fmac_f32_e32 v109, v15, v115
	v_fmac_f32_e32 v33, v14, v121
	v_mul_f32_e32 v18, v14, v122
	ds_read2_b32 v[14:15], v53 offset0:12 offset1:64
	v_fma_f32 v58, v30, v104, -v23
	v_mul_f32_e32 v111, v19, v118
	v_fma_f32 v104, v19, v117, -v16
	v_mul_f32_e32 v19, v12, v120
	s_waitcnt vmcnt(5)
	v_mul_f32_e32 v22, v13, v126
	s_waitcnt lgkmcnt(2)
	v_mul_f32_e32 v102, v27, v126
	v_fmac_f32_e32 v111, v17, v117
	ds_read2_b32 v[16:17], v49 offset0:164 offset1:216
	v_fma_f32 v37, v21, v121, -v18
	v_fma_f32 v32, v26, v119, -v19
	;; [unrolled: 1-line block ×3, first 2 shown]
	s_waitcnt lgkmcnt(2)
	v_mul_f32_e32 v97, v29, v124
	v_mul_f32_e32 v18, v11, v124
	s_waitcnt vmcnt(4)
	v_mul_f32_e32 v27, v28, v130
	v_mul_f32_e32 v19, v10, v130
	;; [unrolled: 1-line block ×3, first 2 shown]
	v_fmac_f32_e32 v97, v11, v123
	v_fma_f32 v99, v29, v123, -v18
	v_fmac_f32_e32 v27, v10, v129
	v_fma_f32 v28, v28, v129, -v19
	v_mul_f32_e32 v18, v6, v128
	s_waitcnt vmcnt(3)
	v_mul_f32_e32 v19, v7, v134
	ds_read2_b32 v[10:11], v77 offset0:4 offset1:108
	v_fmac_f32_e32 v31, v12, v119
	v_fmac_f32_e32 v102, v13, v125
	s_waitcnt lgkmcnt(2)
	v_fma_f32 v22, v14, v127, -v18
	v_fma_f32 v96, v15, v133, -v19
	ds_read2_b32 v[18:19], v45 offset1:156
	ds_read2_b32 v[12:13], v84 offset0:84 offset1:188
	s_waitcnt lgkmcnt(3)
	v_mul_f32_e32 v84, v17, v132
	v_mul_f32_e32 v21, v14, v128
	s_waitcnt vmcnt(2)
	v_mul_f32_e32 v23, v16, v138
	v_fmac_f32_e32 v98, v34, v93
	v_mul_f32_e32 v93, v15, v134
	v_fmac_f32_e32 v84, v5, v131
	;; [unrolled: 2-line block ×4, first 2 shown]
	s_waitcnt vmcnt(1)
	v_mul_f32_e32 v4, v8, v142
	v_fma_f32 v87, v17, v131, -v5
	v_mul_f32_e32 v5, v3, v140
	s_waitcnt lgkmcnt(2)
	v_mul_f32_e32 v46, v11, v140
	s_waitcnt vmcnt(0)
	v_mul_f32_e32 v54, v10, v146
	v_fmac_f32_e32 v106, v36, v91
	v_fmac_f32_e32 v93, v7, v133
	v_mul_f32_e32 v7, v9, v136
	v_fmac_f32_e32 v46, v3, v139
	v_sub_f32_e32 v3, v110, v104
	s_waitcnt lgkmcnt(1)
	v_mul_f32_e32 v86, v19, v144
	s_waitcnt lgkmcnt(0)
	v_mul_f32_e32 v34, v12, v142
	v_fma_f32 v36, v12, v141, -v4
	v_fma_f32 v48, v11, v139, -v5
	v_fmac_f32_e32 v54, v2, v145
	v_mul_f32_e32 v2, v2, v146
	v_mul_f32_e32 v4, v1, v144
	v_add_f32_e32 v5, v108, v111
	v_fmac_f32_e32 v86, v1, v143
	v_mul_f32_e32 v1, 0xbf52af12, v3
	v_mul_f32_e32 v29, v13, v136
	v_fma_f32 v26, v16, v137, -v6
	v_fma_f32 v30, v13, v135, -v7
	v_fmac_f32_e32 v34, v8, v141
	v_mul_f32_e32 v6, 0xbeedf032, v3
	v_fma_f32 v60, v10, v145, -v2
	v_fma_f32 v19, v19, v143, -v4
	v_mul_f32_e32 v4, 0xbf7e222b, v3
	v_fmamk_f32 v7, v5, 0x3f116cb1, v1
	v_fma_f32 v8, 0x3f116cb1, v5, -v1
	v_mul_f32_e32 v1, 0xbf6f5d39, v3
	v_mul_f32_e32 v10, 0xbf29c268, v3
	;; [unrolled: 1-line block ×3, first 2 shown]
	v_fmac_f32_e32 v29, v9, v135
	v_fmamk_f32 v2, v5, 0x3f62ad3f, v6
	v_fma_f32 v6, 0x3f62ad3f, v5, -v6
	v_fmamk_f32 v9, v5, 0x3df6dbef, v4
	v_fma_f32 v4, 0x3df6dbef, v5, -v4
	;; [unrolled: 2-line block ×5, first 2 shown]
	v_add_f32_e32 v5, v0, v108
	v_add_f32_e32 v15, v0, v2
	v_sub_f32_e32 v2, v107, v105
	v_add_f32_e32 v1, v0, v6
	v_add_f32_e32 v6, v0, v7
	;; [unrolled: 1-line block ×4, first 2 shown]
	v_mul_f32_e32 v16, 0xbf52af12, v2
	v_sub_f32_e32 v17, v101, v103
	v_add_f32_e32 v85, v98, v102
	v_add_f32_e32 v5, v5, v98
	v_sub_f32_e32 v91, v95, v99
	v_fmamk_f32 v44, v7, 0x3f116cb1, v16
	v_mul_f32_e32 v88, 0xbf7e222b, v17
	v_add_f32_e32 v92, v94, v97
	v_add_f32_e32 v5, v5, v94
	v_mul_f32_e32 v112, 0xbf6f5d39, v91
	v_add_f32_e32 v15, v44, v15
	v_fmamk_f32 v44, v85, 0x3df6dbef, v88
	v_sub_f32_e32 v113, v90, v96
	v_add_f32_e32 v5, v5, v89
	v_add_f32_e32 v114, v89, v93
	v_sub_f32_e32 v116, v58, v87
	v_add_f32_e32 v15, v44, v15
	v_fmamk_f32 v44, v92, 0xbeb58ec6, v112
	v_add_f32_e32 v5, v5, v56
	v_mul_f32_e32 v115, 0xbf29c268, v113
	v_add_f32_e32 v117, v56, v84
	v_mul_f32_e32 v118, 0xbe750f2a, v116
	v_add_f32_e32 v15, v44, v15
	v_add_f32_e32 v5, v5, v84
	v_fmamk_f32 v44, v114, 0xbf3f9e67, v115
	v_add_f32_e32 v8, v0, v8
	v_add_f32_e32 v9, v0, v9
	v_add_f32_e32 v4, v0, v4
	v_add_f32_e32 v5, v5, v93
	v_add_f32_e32 v11, v0, v11
	v_add_f32_e32 v12, v0, v12
	v_add_f32_e32 v13, v0, v13
	v_add_f32_e32 v10, v0, v10
	v_add_f32_e32 v5, v5, v97
	v_add_f32_e32 v15, v44, v15
	v_fmamk_f32 v44, v117, 0xbf788fa5, v118
	v_add_f32_e32 v14, v0, v14
	v_add_f32_e32 v0, v0, v3
	;; [unrolled: 1-line block ×3, first 2 shown]
	v_mul_f32_e32 v5, 0xbf6f5d39, v2
	v_add_f32_e32 v15, v44, v15
	v_cndmask_b32_e64 v44, 0, 0x548, s1
	v_mul_f32_e32 v120, 0xbe750f2a, v2
	v_mul_f32_e32 v121, 0xbe750f2a, v17
	v_fmamk_f32 v119, v7, 0xbeb58ec6, v5
	v_mul_f32_e32 v122, 0x3f29c268, v91
	v_add3_u32 v100, 0, v44, v43
	v_fmamk_f32 v43, v7, 0xbf788fa5, v120
	v_fmamk_f32 v44, v85, 0xbf788fa5, v121
	v_add_f32_e32 v6, v119, v6
	v_mul_f32_e32 v119, 0x3f6f5d39, v17
	v_mul_f32_e32 v123, 0x3eedf032, v91
	v_add_f32_e32 v9, v43, v9
	v_mul_f32_e32 v124, 0x3f7e222b, v113
	v_add_f32_e32 v6, v44, v6
	v_fmamk_f32 v43, v85, 0xbeb58ec6, v119
	v_fmamk_f32 v44, v92, 0xbf3f9e67, v122
	v_add_f32_e32 v3, v3, v109
	v_mul_f32_e32 v125, 0xbf52af12, v113
	v_mul_f32_e32 v126, 0x3eedf032, v116
	v_add_f32_e32 v9, v43, v9
	v_add_f32_e32 v6, v44, v6
	v_fmamk_f32 v43, v92, 0x3f62ad3f, v123
	v_fmamk_f32 v44, v114, 0x3df6dbef, v124
	v_add_f32_e32 v3, v3, v111
	v_mul_f32_e32 v127, 0x3f29c268, v2
	v_mul_f32_e32 v128, 0x3f7e222b, v2
	v_add_f32_e32 v9, v43, v9
	v_add_f32_e32 v6, v44, v6
	v_fmamk_f32 v43, v114, 0x3f116cb1, v125
	v_fmamk_f32 v44, v117, 0x3f62ad3f, v126
	s_barrier
	buffer_gl0_inv
	ds_write2_b32 v100, v3, v15 offset1:26
	v_add_f32_e32 v3, v43, v9
	v_add_f32_e32 v6, v44, v6
	v_fmamk_f32 v9, v7, 0xbf3f9e67, v127
	v_fmamk_f32 v15, v7, 0x3df6dbef, v128
	v_mul_f32_e32 v43, 0x3eedf032, v17
	v_mul_f32_e32 v44, 0xbf52af12, v17
	;; [unrolled: 1-line block ×3, first 2 shown]
	v_add_f32_e32 v9, v9, v11
	v_add_f32_e32 v11, v15, v13
	v_fmamk_f32 v13, v85, 0x3f62ad3f, v43
	v_fmamk_f32 v15, v85, 0x3f116cb1, v44
	v_mul_f32_e32 v130, 0xbf7e222b, v91
	v_fmamk_f32 v131, v117, 0xbf3f9e67, v129
	v_mul_f32_e32 v132, 0x3e750f2a, v91
	v_add_f32_e32 v9, v13, v9
	v_add_f32_e32 v11, v15, v11
	v_fmamk_f32 v13, v92, 0x3df6dbef, v130
	v_mul_f32_e32 v15, 0x3e750f2a, v113
	v_fmamk_f32 v133, v92, 0xbf788fa5, v132
	v_mul_f32_e32 v134, 0x3eedf032, v113
	v_add_f32_e32 v3, v131, v3
	v_add_f32_e32 v9, v13, v9
	v_fmamk_f32 v13, v114, 0xbf788fa5, v15
	v_add_f32_e32 v11, v133, v11
	v_fmamk_f32 v131, v114, 0x3f62ad3f, v134
	ds_write2_b32 v100, v6, v3 offset0:52 offset1:78
	v_mul_f32_e32 v6, 0x3f52af12, v116
	v_mul_f32_e32 v2, 0x3eedf032, v2
	v_add_f32_e32 v3, v13, v9
	v_add_f32_e32 v9, v131, v11
	v_mul_f32_e32 v13, 0xbf29c268, v17
	v_fmamk_f32 v17, v117, 0x3f116cb1, v6
	v_mul_f32_e32 v131, 0xbf6f5d39, v116
	v_fmamk_f32 v11, v7, 0x3f62ad3f, v2
	v_fma_f32 v2, 0x3f62ad3f, v7, -v2
	v_fma_f32 v43, 0x3f62ad3f, v85, -v43
	v_add_f32_e32 v3, v17, v3
	v_fmamk_f32 v17, v117, 0xbeb58ec6, v131
	v_add_f32_e32 v11, v11, v14
	v_add_f32_e32 v0, v2, v0
	v_fmamk_f32 v2, v85, 0xbf3f9e67, v13
	v_fma_f32 v13, 0xbf3f9e67, v85, -v13
	v_mul_f32_e32 v14, 0x3f52af12, v91
	v_add_f32_e32 v9, v17, v9
	v_fma_f32 v17, 0xbf3f9e67, v7, -v127
	v_add_f32_e32 v2, v2, v11
	v_add_f32_e32 v0, v13, v0
	v_fmamk_f32 v11, v92, 0x3f116cb1, v14
	v_fma_f32 v13, 0x3f116cb1, v92, -v14
	v_mul_f32_e32 v14, 0xbf6f5d39, v113
	v_add_f32_e32 v12, v17, v12
	v_fma_f32 v17, 0x3df6dbef, v7, -v128
	v_add_f32_e32 v2, v11, v2
	v_add_f32_e32 v0, v13, v0
	v_fmamk_f32 v11, v114, 0xbeb58ec6, v14
	v_mul_f32_e32 v13, 0x3f7e222b, v116
	v_add_f32_e32 v10, v17, v10
	v_fma_f32 v17, 0x3f116cb1, v85, -v44
	v_add_f32_e32 v12, v43, v12
	v_add_f32_e32 v2, v11, v2
	v_fma_f32 v11, 0xbeb58ec6, v114, -v14
	v_fma_f32 v43, 0x3df6dbef, v92, -v130
	ds_write2_b32 v100, v3, v9 offset0:104 offset1:130
	v_add_f32_e32 v3, v17, v10
	v_fma_f32 v10, 0xbf788fa5, v92, -v132
	v_fmamk_f32 v14, v117, 0x3df6dbef, v13
	v_add_f32_e32 v0, v11, v0
	v_add_f32_e32 v9, v43, v12
	v_fma_f32 v11, 0xbf788fa5, v114, -v15
	v_fma_f32 v12, 0x3df6dbef, v117, -v13
	;; [unrolled: 1-line block ×4, first 2 shown]
	v_add_f32_e32 v3, v10, v3
	v_fma_f32 v10, 0x3f62ad3f, v114, -v134
	v_add_f32_e32 v9, v11, v9
	v_add_f32_e32 v5, v5, v8
	;; [unrolled: 1-line block ×3, first 2 shown]
	v_fma_f32 v8, 0xbf788fa5, v85, -v121
	v_fma_f32 v11, 0xbeb58ec6, v85, -v119
	v_add_f32_e32 v3, v10, v3
	v_fma_f32 v6, 0x3f116cb1, v117, -v6
	v_fma_f32 v10, 0xbeb58ec6, v117, -v131
	v_add_f32_e32 v2, v14, v2
	v_add_f32_e32 v5, v8, v5
	;; [unrolled: 1-line block ×3, first 2 shown]
	v_fma_f32 v8, 0xbf3f9e67, v92, -v122
	v_fma_f32 v11, 0x3f62ad3f, v92, -v123
	v_add_f32_e32 v0, v12, v0
	v_add_f32_e32 v6, v6, v9
	;; [unrolled: 1-line block ×5, first 2 shown]
	v_fma_f32 v8, 0x3df6dbef, v114, -v124
	v_fma_f32 v9, 0x3f116cb1, v114, -v125
	ds_write2_b32 v100, v2, v0 offset0:156 offset1:182
	ds_write2_b32 v100, v3, v6 offset0:208 offset1:234
	v_fma_f32 v0, 0x3f116cb1, v7, -v16
	v_fma_f32 v6, 0x3df6dbef, v85, -v88
	v_add_f32_e32 v2, v8, v5
	v_add_f32_e32 v3, v9, v4
	v_fma_f32 v4, 0x3f62ad3f, v117, -v126
	v_fma_f32 v5, 0xbf3f9e67, v117, -v129
	v_add_f32_e32 v0, v0, v1
	v_sub_f32_e32 v1, v19, v50
	v_fma_f32 v7, 0xbeb58ec6, v92, -v112
	v_add_f32_e32 v2, v4, v2
	v_add_f32_e32 v3, v5, v3
	;; [unrolled: 1-line block ×3, first 2 shown]
	v_mul_f32_e32 v5, 0xbeedf032, v1
	v_add_f32_e32 v0, v6, v0
	v_sub_f32_e32 v6, v60, v39
	v_add_nc_u32_e32 v112, 0x400, v100
	v_add_f32_e32 v9, v54, v38
	v_fmamk_f32 v8, v4, 0x3f62ad3f, v5
	v_add_f32_e32 v0, v7, v0
	v_mul_f32_e32 v10, 0xbf52af12, v6
	v_sub_f32_e32 v7, v48, v37
	v_fma_f32 v11, 0xbf3f9e67, v114, -v115
	v_add_f32_e32 v8, v20, v8
	v_add_f32_e32 v13, v46, v33
	v_fmamk_f32 v12, v9, 0x3f116cb1, v10
	v_mul_f32_e32 v14, 0xbf7e222b, v7
	ds_write2_b32 v112, v3, v2 offset0:4 offset1:30
	v_sub_f32_e32 v2, v36, v32
	v_add_f32_e32 v17, v20, v86
	v_add_f32_e32 v0, v11, v0
	;; [unrolled: 1-line block ×3, first 2 shown]
	v_fmamk_f32 v8, v13, 0x3df6dbef, v14
	v_add_f32_e32 v11, v34, v31
	v_mul_f32_e32 v12, 0xbf6f5d39, v2
	v_fma_f32 v15, 0xbf788fa5, v117, -v118
	v_sub_f32_e32 v16, v30, v28
	v_add_f32_e32 v17, v17, v54
	v_add_f32_e32 v3, v8, v3
	v_fmamk_f32 v8, v11, 0xbeb58ec6, v12
	v_add_f32_e32 v43, v29, v27
	v_mul_f32_e32 v44, 0xbf29c268, v16
	v_add_f32_e32 v0, v15, v0
	v_sub_f32_e32 v15, v26, v22
	v_add_f32_e32 v17, v17, v46
	v_add_f32_e32 v3, v8, v3
	v_fmamk_f32 v8, v43, 0xbf3f9e67, v44
	v_add_f32_e32 v85, v23, v21
	v_mul_f32_e32 v88, 0xbe750f2a, v15
	v_add_f32_e32 v17, v17, v34
	v_mov_b32_e32 v91, 0x548
	v_add_f32_e32 v3, v8, v3
	v_mov_b32_e32 v92, 2
	v_fmamk_f32 v8, v85, 0xbf788fa5, v88
	v_add_f32_e32 v17, v17, v29
	v_mul_u32_u24_sdwa v41, v41, v91 dst_sel:DWORD dst_unused:UNUSED_PAD src0_sel:WORD_0 src1_sel:DWORD
	v_mul_f32_e32 v91, 0xbf52af12, v1
	ds_write_b32 v100, v0 offset:1248
	v_add_f32_e32 v3, v8, v3
	v_mul_f32_e32 v8, 0xbf7e222b, v1
	v_add_f32_e32 v0, v17, v23
	v_lshlrev_b32_sdwa v42, v92, v42 dst_sel:DWORD dst_unused:UNUSED_PAD src0_sel:DWORD src1_sel:BYTE_0
	v_fmamk_f32 v17, v4, 0x3f116cb1, v91
	v_mul_f32_e32 v92, 0xbf6f5d39, v6
	v_fmamk_f32 v113, v4, 0x3df6dbef, v8
	v_mul_f32_e32 v114, 0xbe750f2a, v6
	v_add_f32_e32 v0, v0, v21
	v_add_f32_e32 v17, v20, v17
	v_fmamk_f32 v115, v9, 0xbeb58ec6, v92
	v_add_f32_e32 v113, v20, v113
	v_fmamk_f32 v116, v9, 0xbf788fa5, v114
	v_mul_f32_e32 v117, 0xbe750f2a, v7
	v_mul_f32_e32 v118, 0x3f6f5d39, v7
	v_add_f32_e32 v0, v0, v27
	v_add_f32_e32 v17, v115, v17
	v_add_f32_e32 v113, v116, v113
	v_fmamk_f32 v115, v13, 0xbf788fa5, v117
	v_fmamk_f32 v116, v13, 0xbeb58ec6, v118
	v_mul_f32_e32 v119, 0x3f29c268, v2
	v_mul_f32_e32 v120, 0x3eedf032, v2
	v_add_f32_e32 v0, v0, v31
	v_add_f32_e32 v17, v115, v17
	v_add_f32_e32 v113, v116, v113
	v_fmamk_f32 v115, v11, 0xbf3f9e67, v119
	;; [unrolled: 7-line block ×4, first 2 shown]
	v_fmamk_f32 v125, v85, 0xbf3f9e67, v124
	v_add3_u32 v113, 0, v41, v42
	v_add_f32_e32 v0, v0, v52
	v_mul_f32_e32 v41, 0xbf6f5d39, v1
	v_add_f32_e32 v17, v116, v17
	v_add_f32_e32 v42, v125, v115
	v_mul_f32_e32 v115, 0xbf29c268, v1
	ds_write2_b32 v113, v0, v3 offset1:26
	v_fmamk_f32 v0, v4, 0xbeb58ec6, v41
	v_mul_f32_e32 v3, 0x3f29c268, v6
	ds_write2_b32 v113, v17, v42 offset0:52 offset1:78
	v_fmamk_f32 v17, v4, 0xbf3f9e67, v115
	v_mul_f32_e32 v42, 0x3f7e222b, v6
	v_add_f32_e32 v0, v20, v0
	v_fmamk_f32 v116, v9, 0xbf3f9e67, v3
	v_mul_f32_e32 v125, 0x3eedf032, v7
	v_add_f32_e32 v17, v20, v17
	;; [unrolled: 3-line block ×10, first 2 shown]
	v_fmamk_f32 v126, v85, 0x3f116cb1, v132
	v_fma_f32 v1, 0xbf788fa5, v4, -v1
	v_add_f32_e32 v116, v20, v116
	v_fmamk_f32 v133, v9, 0x3f62ad3f, v6
	v_mul_f32_e32 v7, 0xbf29c268, v7
	v_add_f32_e32 v0, v126, v0
	v_add_f32_e32 v1, v20, v1
	v_fma_f32 v6, 0x3f62ad3f, v9, -v6
	v_add_f32_e32 v116, v133, v116
	v_fmamk_f32 v126, v13, 0xbf3f9e67, v7
	v_mul_f32_e32 v2, 0x3f52af12, v2
	v_mul_f32_e32 v16, 0xbf6f5d39, v16
	v_add_f32_e32 v1, v6, v1
	v_fma_f32 v6, 0xbf3f9e67, v13, -v7
	v_add_f32_e32 v7, v126, v116
	v_fmamk_f32 v116, v11, 0x3f116cb1, v2
	v_fma_f32 v2, 0x3f116cb1, v11, -v2
	v_fma_f32 v41, 0xbeb58ec6, v4, -v41
	v_add_f32_e32 v1, v6, v1
	v_fma_f32 v3, 0xbf3f9e67, v9, -v3
	v_add_f32_e32 v6, v116, v7
	v_fmamk_f32 v7, v43, 0xbeb58ec6, v16
	v_fma_f32 v16, 0xbeb58ec6, v43, -v16
	v_add_f32_e32 v1, v2, v1
	v_fma_f32 v2, 0xbf3f9e67, v4, -v115
	v_mul_f32_e32 v133, 0xbf6f5d39, v15
	v_add_f32_e32 v6, v7, v6
	v_add_f32_e32 v7, v20, v41
	v_fma_f32 v41, 0x3df6dbef, v9, -v42
	v_add_f32_e32 v2, v20, v2
	v_mul_f32_e32 v15, 0x3f7e222b, v15
	v_add_f32_e32 v1, v16, v1
	v_add_f32_e32 v3, v3, v7
	v_fma_f32 v7, 0x3f62ad3f, v13, -v125
	v_add_f32_e32 v2, v41, v2
	v_fma_f32 v16, 0x3f116cb1, v13, -v127
	v_fmamk_f32 v41, v85, 0x3df6dbef, v15
	v_fma_f32 v15, 0x3df6dbef, v85, -v15
	v_add_f32_e32 v3, v7, v3
	v_fma_f32 v7, 0x3df6dbef, v11, -v128
	v_add_f32_e32 v2, v16, v2
	;; [unrolled: 2-line block ×4, first 2 shown]
	v_fma_f32 v7, 0xbf788fa5, v43, -v130
	v_fma_f32 v8, 0x3df6dbef, v4, -v8
	v_add_f32_e32 v2, v16, v2
	v_fma_f32 v4, 0x3f62ad3f, v4, -v5
	v_add_f32_e32 v5, v20, v15
	v_add_f32_e32 v3, v7, v3
	v_fma_f32 v7, 0x3f62ad3f, v43, -v131
	v_add_f32_e32 v8, v20, v8
	v_fma_f32 v15, 0xbeb58ec6, v9, -v92
	v_fma_f32 v16, 0xbf788fa5, v9, -v114
	v_add_f32_e32 v4, v20, v4
	v_add_f32_e32 v2, v7, v2
	v_fma_f32 v7, 0x3f116cb1, v9, -v10
	v_add_f32_e32 v5, v15, v5
	v_add_f32_e32 v8, v16, v8
	v_fma_f32 v9, 0xbf788fa5, v13, -v117
	v_fma_f32 v10, 0xbeb58ec6, v13, -v118
	v_add_f32_e32 v4, v7, v4
	v_fma_f32 v7, 0x3df6dbef, v13, -v14
	v_fmamk_f32 v126, v85, 0xbeb58ec6, v133
	v_add_f32_e32 v5, v9, v5
	v_add_f32_e32 v8, v10, v8
	v_fma_f32 v9, 0xbf3f9e67, v11, -v119
	v_fma_f32 v10, 0x3f62ad3f, v11, -v120
	v_add_f32_e32 v4, v7, v4
	v_fma_f32 v7, 0xbeb58ec6, v11, -v12
	v_fma_f32 v15, 0x3f116cb1, v85, -v132
	v_add_f32_e32 v5, v9, v5
	v_add_f32_e32 v8, v10, v8
	v_fma_f32 v9, 0x3df6dbef, v43, -v121
	v_fma_f32 v10, 0x3f116cb1, v43, -v122
	v_add_f32_e32 v4, v7, v4
	v_fma_f32 v7, 0xbf3f9e67, v43, -v44
	v_fma_f32 v11, 0xbeb58ec6, v85, -v133
	v_add_f32_e32 v5, v9, v5
	v_add_f32_e32 v8, v10, v8
	v_fma_f32 v9, 0x3f62ad3f, v85, -v123
	v_fma_f32 v10, 0xbf3f9e67, v85, -v124
	v_add_f32_e32 v4, v7, v4
	v_fma_f32 v7, 0xbf788fa5, v85, -v88
	v_add_f32_e32 v17, v126, v17
	v_add_f32_e32 v6, v41, v6
	v_add_f32_e32 v3, v15, v3
	v_add_f32_e32 v2, v11, v2
	v_add_f32_e32 v41, v9, v5
	v_add_f32_e32 v5, v10, v8
	v_add_nc_u32_e32 v20, 0x400, v113
	v_lshl_add_u32 v115, v74, 2, 0
	v_add_f32_e32 v42, v7, v4
	ds_write2_b32 v113, v0, v17 offset0:104 offset1:130
	ds_write2_b32 v113, v6, v1 offset0:156 offset1:182
	;; [unrolled: 1-line block ×4, first 2 shown]
	ds_write_b32 v113, v42 offset:1248
	s_waitcnt lgkmcnt(0)
	s_barrier
	buffer_gl0_inv
	v_lshl_add_u32 v114, v76, 2, 0
	ds_read_b32 v88, v83
	ds_read_b32 v92, v45
	;; [unrolled: 1-line block ×6, first 2 shown]
	ds_read2_b32 v[2:3], v77 offset0:82 offset1:134
	ds_read2_b32 v[0:1], v49 offset0:164 offset1:216
	;; [unrolled: 1-line block ×9, first 2 shown]
	v_sub_nc_u32_e32 v43, 0, v80
	v_sub_nc_u32_e32 v80, 0, v79
	;; [unrolled: 1-line block ×3, first 2 shown]
                                        ; implicit-def: $vgpr44
	v_add_nc_u32_e32 v78, v78, v43
                                        ; implicit-def: $vgpr43
	s_and_saveexec_b32 s1, s0
	s_cbranch_execz .LBB0_15
; %bb.14:
	ds_read_b32 v42, v45 offset:2600
	ds_read_b32 v43, v45 offset:3952
	ds_read_b32 v41, v78
	ds_read_b32 v44, v45 offset:5304
.LBB0_15:
	s_or_b32 exec_lo, exec_lo, s1
	v_add_f32_e32 v81, v18, v110
	v_add_f32_e32 v110, v110, v104
	v_sub_f32_e32 v108, v108, v111
	v_add_f32_e32 v111, v107, v105
	v_sub_f32_e32 v106, v106, v109
	v_add_f32_e32 v81, v81, v107
	v_mul_f32_e32 v109, 0x3f116cb1, v110
	v_mul_f32_e32 v107, 0x3f62ad3f, v110
	;; [unrolled: 1-line block ×4, first 2 shown]
	v_add_f32_e32 v81, v81, v101
	v_fmamk_f32 v124, v108, 0x3f52af12, v109
	v_fmac_f32_e32 v109, 0xbf52af12, v108
	v_mul_f32_e32 v117, 0xbeb58ec6, v110
	v_mul_f32_e32 v118, 0xbf3f9e67, v110
	v_add_f32_e32 v81, v81, v95
	v_mul_f32_e32 v110, 0xbf788fa5, v110
	v_fmamk_f32 v129, v106, 0x3f6f5d39, v120
	v_fmac_f32_e32 v120, 0xbf6f5d39, v106
	v_add_f32_e32 v109, v18, v109
	v_add_f32_e32 v81, v81, v90
	v_mul_f32_e32 v119, 0x3f116cb1, v111
	v_mul_f32_e32 v121, 0xbf788fa5, v111
	v_fmamk_f32 v123, v108, 0x3eedf032, v107
	v_fmac_f32_e32 v107, 0xbeedf032, v108
	v_add_f32_e32 v81, v81, v58
	v_fmamk_f32 v125, v108, 0x3f7e222b, v116
	v_fmac_f32_e32 v116, 0xbf7e222b, v108
	v_fmamk_f32 v126, v108, 0x3f6f5d39, v117
	v_fmac_f32_e32 v117, 0xbf6f5d39, v108
	v_add_f32_e32 v81, v81, v87
	v_fmamk_f32 v127, v108, 0x3f29c268, v118
	v_fmac_f32_e32 v118, 0xbf29c268, v108
	v_fmamk_f32 v128, v108, 0x3e750f2a, v110
	v_fmac_f32_e32 v110, 0xbe750f2a, v108
	v_add_f32_e32 v81, v81, v96
	v_add_f32_e32 v109, v120, v109
	v_mul_f32_e32 v120, 0x3df6dbef, v111
	v_add_f32_e32 v101, v101, v103
	v_mul_f32_e32 v122, 0xbf3f9e67, v111
	v_add_f32_e32 v81, v81, v99
	v_fmamk_f32 v108, v106, 0x3f52af12, v119
	v_fmac_f32_e32 v119, 0xbf52af12, v106
	v_add_f32_e32 v123, v18, v123
	v_add_f32_e32 v107, v18, v107
	;; [unrolled: 1-line block ×14, first 2 shown]
	v_fmamk_f32 v104, v106, 0x3e750f2a, v121
	v_fmac_f32_e32 v121, 0xbe750f2a, v106
	v_fmamk_f32 v103, v106, 0xbf7e222b, v120
	v_mul_f32_e32 v111, 0x3f62ad3f, v111
	v_fmac_f32_e32 v120, 0x3f7e222b, v106
	v_sub_f32_e32 v98, v98, v102
	v_mul_f32_e32 v102, 0x3df6dbef, v101
	v_add_f32_e32 v108, v108, v123
	v_add_f32_e32 v107, v119, v107
	v_fmamk_f32 v119, v106, 0xbf29c268, v122
	v_fmac_f32_e32 v122, 0x3f29c268, v106
	v_add_f32_e32 v116, v121, v116
	v_fmamk_f32 v121, v106, 0xbeedf032, v111
	v_fmac_f32_e32 v111, 0x3eedf032, v106
	v_add_f32_e32 v106, v120, v118
	v_fmamk_f32 v118, v98, 0x3f7e222b, v102
	v_mul_f32_e32 v120, 0xbf788fa5, v101
	v_add_f32_e32 v81, v129, v124
	v_add_f32_e32 v110, v111, v110
	;; [unrolled: 1-line block ×4, first 2 shown]
	v_fmamk_f32 v111, v98, 0x3e750f2a, v120
	v_mul_f32_e32 v118, 0xbeb58ec6, v101
	v_fmac_f32_e32 v102, 0xbf7e222b, v98
	v_add_f32_e32 v95, v95, v99
	v_add_f32_e32 v103, v103, v127
	;; [unrolled: 1-line block ×3, first 2 shown]
	v_fmamk_f32 v111, v98, 0xbf6f5d39, v118
	v_fmac_f32_e32 v120, 0xbe750f2a, v98
	v_add_f32_e32 v102, v102, v107
	v_mul_f32_e32 v107, 0x3f62ad3f, v101
	v_sub_f32_e32 v94, v94, v97
	v_add_f32_e32 v104, v111, v104
	v_mul_f32_e32 v111, 0x3f116cb1, v101
	v_mul_f32_e32 v101, 0xbf3f9e67, v101
	;; [unrolled: 1-line block ×3, first 2 shown]
	v_add_f32_e32 v105, v121, v105
	v_add_f32_e32 v109, v120, v109
	v_fmamk_f32 v99, v98, 0x3f52af12, v111
	v_fmac_f32_e32 v111, 0xbf52af12, v98
	v_fmac_f32_e32 v118, 0x3f6f5d39, v98
	v_fmamk_f32 v120, v98, 0xbeedf032, v107
	v_fmac_f32_e32 v107, 0x3eedf032, v98
	v_add_f32_e32 v99, v99, v103
	v_fmamk_f32 v103, v98, 0x3f29c268, v101
	v_fmac_f32_e32 v101, 0xbf29c268, v98
	v_add_f32_e32 v98, v111, v106
	v_fmamk_f32 v106, v94, 0x3f6f5d39, v97
	v_mul_f32_e32 v111, 0xbf3f9e67, v95
	v_fmac_f32_e32 v97, 0xbf6f5d39, v94
	v_add_f32_e32 v119, v119, v126
	v_add_f32_e32 v103, v103, v105
	;; [unrolled: 1-line block ×3, first 2 shown]
	v_fmamk_f32 v106, v94, 0xbf29c268, v111
	v_fmac_f32_e32 v111, 0x3f29c268, v94
	v_mul_f32_e32 v108, 0x3f62ad3f, v95
	v_add_f32_e32 v97, v97, v102
	v_mul_f32_e32 v102, 0x3df6dbef, v95
	v_add_f32_e32 v116, v118, v116
	v_add_f32_e32 v118, v120, v119
	;; [unrolled: 1-line block ×5, first 2 shown]
	v_fmamk_f32 v109, v94, 0xbeedf032, v108
	v_fmamk_f32 v110, v94, 0x3f7e222b, v102
	v_mul_f32_e32 v111, 0xbf788fa5, v95
	v_add_f32_e32 v90, v90, v96
	v_mul_f32_e32 v95, 0x3f116cb1, v95
	v_add_f32_e32 v104, v109, v104
	v_add_f32_e32 v109, v110, v118
	v_fmamk_f32 v110, v94, 0xbe750f2a, v111
	v_add_f32_e32 v117, v122, v117
	v_fmac_f32_e32 v108, 0x3eedf032, v94
	v_fmac_f32_e32 v102, 0xbf7e222b, v94
	v_fmac_f32_e32 v111, 0x3e750f2a, v94
	v_add_f32_e32 v96, v110, v99
	v_sub_f32_e32 v89, v89, v93
	v_fmamk_f32 v99, v94, 0xbf52af12, v95
	v_fmac_f32_e32 v95, 0x3f52af12, v94
	v_mul_f32_e32 v94, 0x3df6dbef, v90
	v_add_f32_e32 v107, v107, v117
	v_mul_f32_e32 v93, 0xbf3f9e67, v90
	v_add_f32_e32 v99, v99, v103
	v_add_f32_e32 v95, v95, v101
	v_fmamk_f32 v101, v89, 0xbf7e222b, v94
	v_add_f32_e32 v102, v102, v107
	v_fmamk_f32 v107, v89, 0x3f29c268, v93
	v_sub_f32_e32 v56, v56, v84
	v_fmac_f32_e32 v93, 0xbf29c268, v89
	v_add_f32_e32 v81, v101, v81
	v_mul_f32_e32 v101, 0xbf788fa5, v90
	v_add_f32_e32 v103, v107, v105
	v_mul_f32_e32 v105, 0x3f62ad3f, v90
	;; [unrolled: 2-line block ×3, first 2 shown]
	v_fmamk_f32 v107, v89, 0xbe750f2a, v101
	v_fmac_f32_e32 v101, 0x3e750f2a, v89
	v_add_f32_e32 v98, v111, v98
	v_fmac_f32_e32 v94, 0x3f7e222b, v89
	v_add_f32_e32 v93, v93, v97
	v_mul_f32_e32 v97, 0x3f116cb1, v90
	v_add_f32_e32 v101, v101, v102
	v_add_f32_e32 v102, v35, v19
	v_fmamk_f32 v110, v89, 0xbeedf032, v105
	v_fmac_f32_e32 v105, 0x3eedf032, v89
	v_mul_f32_e32 v90, 0xbf788fa5, v58
	v_add_f32_e32 v94, v94, v106
	v_add_f32_e32 v84, v102, v60
	v_fmamk_f32 v102, v89, 0x3f6f5d39, v87
	v_fmac_f32_e32 v87, 0xbf6f5d39, v89
	v_fmamk_f32 v106, v89, 0x3f52af12, v97
	v_fmac_f32_e32 v97, 0xbf52af12, v89
	v_add_f32_e32 v84, v84, v48
	v_add_f32_e32 v89, v105, v98
	v_fmamk_f32 v98, v56, 0x3e750f2a, v90
	v_add_f32_e32 v87, v87, v95
	v_mul_f32_e32 v95, 0x3f62ad3f, v58
	v_add_f32_e32 v84, v84, v36
	v_add_f32_e32 v99, v102, v99
	;; [unrolled: 1-line block ×3, first 2 shown]
	v_fmac_f32_e32 v90, 0xbe750f2a, v56
	v_mul_f32_e32 v102, 0xbf3f9e67, v58
	v_add_f32_e32 v84, v84, v30
	v_fmamk_f32 v103, v56, 0xbeedf032, v95
	v_fmac_f32_e32 v95, 0x3eedf032, v56
	v_add_f32_e32 v104, v106, v104
	v_add_f32_e32 v90, v90, v93
	v_add_f32_e32 v84, v84, v26
	v_fmamk_f32 v93, v56, 0x3f29c268, v102
	v_add_f32_e32 v94, v95, v94
	v_mul_f32_e32 v95, 0x3f116cb1, v58
	v_add_f32_e32 v108, v108, v116
	v_add_f32_e32 v84, v84, v22
	;; [unrolled: 1-line block ×4, first 2 shown]
	v_mul_f32_e32 v103, 0xbeb58ec6, v58
	v_fmamk_f32 v104, v56, 0xbf52af12, v95
	v_add_f32_e32 v84, v84, v28
	v_fmac_f32_e32 v95, 0x3f52af12, v56
	v_mul_f32_e32 v58, 0x3df6dbef, v58
	v_add_f32_e32 v19, v19, v50
	v_add_f32_e32 v97, v97, v108
	;; [unrolled: 1-line block ×4, first 2 shown]
	v_fmac_f32_e32 v102, 0xbf29c268, v56
	v_add_f32_e32 v95, v95, v101
	v_fmamk_f32 v101, v56, 0xbf7e222b, v58
	v_add_f32_e32 v84, v84, v37
	v_sub_f32_e32 v52, v86, v52
	v_mul_f32_e32 v86, 0x3f62ad3f, v19
	v_add_f32_e32 v96, v110, v96
	v_add_f32_e32 v97, v102, v97
	v_fmamk_f32 v102, v56, 0x3f6f5d39, v103
	v_add_f32_e32 v104, v104, v106
	v_fmac_f32_e32 v103, 0xbf6f5d39, v56
	v_fmac_f32_e32 v58, 0x3f7e222b, v56
	v_add_f32_e32 v56, v84, v39
	v_add_f32_e32 v84, v101, v99
	v_fmamk_f32 v99, v52, 0x3eedf032, v86
	v_mul_f32_e32 v106, 0xbf3f9e67, v19
	v_add_f32_e32 v39, v60, v39
	v_add_f32_e32 v96, v102, v96
	v_mul_f32_e32 v101, 0x3f116cb1, v19
	v_add_f32_e32 v50, v56, v50
	v_add_f32_e32 v56, v35, v99
	v_mul_f32_e32 v99, 0x3df6dbef, v19
	v_mul_f32_e32 v102, 0xbeb58ec6, v19
	v_fmamk_f32 v60, v52, 0x3f29c268, v106
	v_mul_f32_e32 v19, 0xbf788fa5, v19
	v_fmac_f32_e32 v106, 0xbf29c268, v52
	v_sub_f32_e32 v38, v54, v38
	v_mul_f32_e32 v54, 0x3f116cb1, v39
	v_add_f32_e32 v89, v103, v89
	v_add_f32_e32 v58, v58, v87
	v_fmac_f32_e32 v86, 0xbeedf032, v52
	v_fmamk_f32 v87, v52, 0x3f52af12, v101
	v_fmac_f32_e32 v101, 0xbf52af12, v52
	v_fmamk_f32 v103, v52, 0x3f7e222b, v99
	;; [unrolled: 2-line block ×4, first 2 shown]
	v_fmac_f32_e32 v19, 0xbe750f2a, v52
	v_add_f32_e32 v52, v35, v106
	v_fmamk_f32 v106, v38, 0x3f52af12, v54
	v_mul_f32_e32 v108, 0xbeb58ec6, v39
	v_add_f32_e32 v86, v35, v86
	v_add_f32_e32 v87, v35, v87
	;; [unrolled: 1-line block ×11, first 2 shown]
	v_fmamk_f32 v56, v38, 0x3f6f5d39, v108
	v_mul_f32_e32 v106, 0xbf788fa5, v39
	v_fmac_f32_e32 v54, 0xbf52af12, v38
	v_fmac_f32_e32 v108, 0xbf6f5d39, v38
	v_add_f32_e32 v37, v48, v37
	v_add_f32_e32 v56, v56, v87
	v_fmamk_f32 v87, v38, 0x3e750f2a, v106
	v_add_f32_e32 v54, v54, v86
	v_mul_f32_e32 v86, 0xbf3f9e67, v39
	v_add_f32_e32 v101, v108, v101
	v_sub_f32_e32 v33, v46, v33
	v_add_f32_e32 v87, v87, v103
	v_mul_f32_e32 v103, 0x3df6dbef, v39
	v_fmamk_f32 v108, v38, 0xbf29c268, v86
	v_fmac_f32_e32 v86, 0x3f29c268, v38
	v_mul_f32_e32 v39, 0x3f62ad3f, v39
	v_mul_f32_e32 v46, 0x3df6dbef, v37
	v_fmamk_f32 v48, v38, 0xbf7e222b, v103
	v_fmac_f32_e32 v103, 0x3f7e222b, v38
	v_fmac_f32_e32 v106, 0xbe750f2a, v38
	v_add_f32_e32 v86, v86, v102
	v_mul_f32_e32 v102, 0xbf788fa5, v37
	v_add_f32_e32 v48, v48, v60
	v_fmamk_f32 v60, v38, 0xbeedf032, v39
	v_fmac_f32_e32 v39, 0x3eedf032, v38
	v_add_f32_e32 v38, v103, v52
	v_fmamk_f32 v52, v33, 0x3f7e222b, v46
	v_fmac_f32_e32 v46, 0xbf7e222b, v33
	v_add_f32_e32 v32, v36, v32
	v_add_f32_e32 v19, v39, v19
	v_fmamk_f32 v39, v33, 0x3e750f2a, v102
	v_add_f32_e32 v35, v52, v35
	v_mul_f32_e32 v52, 0xbeb58ec6, v37
	v_fmac_f32_e32 v102, 0xbe750f2a, v33
	v_add_f32_e32 v46, v46, v54
	v_add_f32_e32 v39, v39, v56
	v_mul_f32_e32 v54, 0x3f62ad3f, v37
	v_fmamk_f32 v56, v33, 0xbf6f5d39, v52
	v_add_f32_e32 v101, v102, v101
	v_sub_f32_e32 v31, v34, v31
	v_mul_f32_e32 v34, 0xbeb58ec6, v32
	v_fmamk_f32 v102, v33, 0xbeedf032, v54
	v_add_f32_e32 v56, v56, v87
	v_mul_f32_e32 v87, 0x3f116cb1, v37
	v_fmac_f32_e32 v54, 0x3eedf032, v33
	v_mul_f32_e32 v37, 0xbf3f9e67, v37
	v_fmac_f32_e32 v52, 0x3f6f5d39, v33
	v_add_f32_e32 v60, v60, v107
	v_fmamk_f32 v36, v33, 0x3f52af12, v87
	v_fmac_f32_e32 v87, 0xbf52af12, v33
	v_add_f32_e32 v54, v54, v86
	v_mul_f32_e32 v86, 0xbf3f9e67, v32
	v_add_f32_e32 v28, v30, v28
	v_add_f32_e32 v36, v36, v48
	v_fmamk_f32 v48, v33, 0x3f29c268, v37
	v_fmac_f32_e32 v37, 0xbf29c268, v33
	v_add_f32_e32 v33, v87, v38
	v_fmamk_f32 v38, v31, 0x3f6f5d39, v34
	v_fmac_f32_e32 v34, 0xbf6f5d39, v31
	v_add_f32_e32 v48, v48, v60
	v_add_f32_e32 v19, v37, v19
	v_fmamk_f32 v37, v31, 0xbf29c268, v86
	v_add_f32_e32 v35, v38, v35
	v_mul_f32_e32 v38, 0x3f62ad3f, v32
	v_fmac_f32_e32 v86, 0x3f29c268, v31
	v_add_f32_e32 v34, v34, v46
	v_add_f32_e32 v37, v37, v39
	v_mul_f32_e32 v46, 0x3df6dbef, v32
	v_fmamk_f32 v39, v31, 0xbeedf032, v38
	v_add_f32_e32 v60, v86, v101
	v_sub_f32_e32 v27, v29, v27
	v_mul_f32_e32 v29, 0xbf3f9e67, v28
	v_fmamk_f32 v86, v31, 0x3f7e222b, v46
	v_add_f32_e32 v39, v39, v56
	v_mul_f32_e32 v56, 0xbf788fa5, v32
	v_fmac_f32_e32 v46, 0xbf7e222b, v31
	v_mul_f32_e32 v32, 0x3f116cb1, v32
	v_add_f32_e32 v99, v106, v99
	v_fmac_f32_e32 v38, 0x3eedf032, v31
	v_fmamk_f32 v30, v31, 0xbe750f2a, v56
	v_add_f32_e32 v46, v46, v54
	v_fmac_f32_e32 v56, 0x3e750f2a, v31
	v_mul_f32_e32 v54, 0x3df6dbef, v28
	v_add_f32_e32 v52, v52, v99
	v_add_f32_e32 v30, v30, v36
	v_fmamk_f32 v36, v31, 0xbf52af12, v32
	v_fmac_f32_e32 v32, 0x3f52af12, v31
	v_fmamk_f32 v31, v27, 0x3f29c268, v29
	v_fmac_f32_e32 v29, 0xbf29c268, v27
	v_add_f32_e32 v38, v38, v52
	v_add_f32_e32 v36, v36, v48
	v_add_f32_e32 v19, v32, v19
	v_add_f32_e32 v31, v31, v35
	v_fmamk_f32 v32, v27, 0xbf7e222b, v54
	v_mul_f32_e32 v35, 0x3f116cb1, v28
	v_add_f32_e32 v29, v29, v34
	v_mul_f32_e32 v34, 0xbf788fa5, v28
	v_add_f32_e32 v22, v26, v22
	v_add_f32_e32 v32, v32, v37
	v_fmamk_f32 v37, v27, 0x3f52af12, v35
	v_fmac_f32_e32 v35, 0xbf52af12, v27
	v_fmamk_f32 v48, v27, 0xbe750f2a, v34
	v_fmac_f32_e32 v34, 0x3e750f2a, v27
	v_mul_f32_e32 v26, 0xbeb58ec6, v28
	v_add_f32_e32 v105, v108, v105
	v_add_f32_e32 v35, v35, v38
	v_mul_f32_e32 v38, 0x3f62ad3f, v28
	v_add_f32_e32 v33, v56, v33
	v_add_f32_e32 v34, v34, v46
	v_sub_f32_e32 v21, v23, v21
	v_mul_f32_e32 v23, 0xbf788fa5, v22
	v_fmamk_f32 v28, v27, 0xbeedf032, v38
	v_fmac_f32_e32 v38, 0x3eedf032, v27
	v_fmamk_f32 v46, v27, 0x3f6f5d39, v26
	v_add_f32_e32 v99, v102, v105
	v_fmac_f32_e32 v54, 0x3f7e222b, v27
	v_add_f32_e32 v28, v28, v30
	v_add_f32_e32 v30, v38, v33
	v_fmac_f32_e32 v26, 0xbf6f5d39, v27
	v_fmamk_f32 v27, v21, 0x3e750f2a, v23
	v_add_f32_e32 v33, v46, v36
	v_mul_f32_e32 v36, 0x3f62ad3f, v22
	v_add_f32_e32 v52, v86, v99
	v_add_f32_e32 v54, v54, v60
	v_fmac_f32_e32 v23, 0xbe750f2a, v21
	v_add_f32_e32 v19, v26, v19
	v_add_f32_e32 v26, v27, v31
	v_mul_f32_e32 v27, 0xbf3f9e67, v22
	v_fmamk_f32 v31, v21, 0xbeedf032, v36
	v_fmac_f32_e32 v36, 0x3eedf032, v21
	v_add_f32_e32 v37, v37, v39
	v_add_f32_e32 v39, v48, v52
	;; [unrolled: 1-line block ×3, first 2 shown]
	v_mul_f32_e32 v23, 0x3f116cb1, v22
	v_fmamk_f32 v29, v21, 0x3f29c268, v27
	v_add_f32_e32 v46, v36, v54
	v_mul_f32_e32 v36, 0xbeb58ec6, v22
	v_mul_f32_e32 v22, 0x3df6dbef, v22
	v_fmac_f32_e32 v27, 0xbf29c268, v21
	v_add_f32_e32 v29, v29, v37
	v_add_f32_e32 v31, v31, v32
	v_fmamk_f32 v32, v21, 0xbf52af12, v23
	v_fmamk_f32 v37, v21, 0xbf7e222b, v22
	v_fmac_f32_e32 v22, 0x3f7e222b, v21
	v_add_f32_e32 v27, v27, v35
	v_fmac_f32_e32 v23, 0x3f52af12, v21
	v_fmamk_f32 v35, v21, 0x3f6f5d39, v36
	v_fmac_f32_e32 v36, 0xbf6f5d39, v21
	v_add_f32_e32 v19, v22, v19
	v_add_f32_e32 v32, v32, v39
	;; [unrolled: 1-line block ×6, first 2 shown]
	s_waitcnt lgkmcnt(0)
	s_barrier
	buffer_gl0_inv
	ds_write2_b32 v100, v18, v98 offset1:26
	ds_write2_b32 v100, v81, v93 offset0:52 offset1:78
	ds_write2_b32 v100, v104, v96 offset0:104 offset1:130
	;; [unrolled: 1-line block ×5, first 2 shown]
	ds_write_b32 v100, v90 offset:1248
	ds_write2_b32 v113, v50, v26 offset1:26
	ds_write2_b32 v113, v31, v29 offset0:52 offset1:78
	ds_write2_b32 v113, v32, v23 offset0:104 offset1:130
	;; [unrolled: 1-line block ×5, first 2 shown]
	ds_write_b32 v113, v48 offset:1248
	v_add_nc_u32_e32 v19, v51, v79
	s_waitcnt lgkmcnt(0)
	s_barrier
	buffer_gl0_inv
	ds_read2_b32 v[20:21], v77 offset0:82 offset1:134
	ds_read2_b32 v[26:27], v49 offset0:164 offset1:216
	;; [unrolled: 1-line block ×3, first 2 shown]
	v_add_nc_u32_e32 v18, v47, v80
	ds_read2_b32 v[28:29], v77 offset0:186 offset1:238
	ds_read2_b32 v[32:33], v53 offset0:12 offset1:64
	;; [unrolled: 1-line block ×3, first 2 shown]
	ds_read_b32 v56, v45
	ds_read_b32 v50, v57
	;; [unrolled: 1-line block ×4, first 2 shown]
	ds_read2_b32 v[34:35], v49 offset0:34 offset1:86
	ds_read2_b32 v[38:39], v53 offset0:116 offset1:168
	;; [unrolled: 1-line block ×3, first 2 shown]
	ds_read_b32 v51, v18
	ds_read_b32 v53, v114
                                        ; implicit-def: $vgpr47
                                        ; implicit-def: $vgpr49
	s_and_saveexec_b32 s1, s0
	s_cbranch_execz .LBB0_17
; %bb.16:
	ds_read_b32 v48, v45 offset:2600
	ds_read_b32 v47, v45 offset:3952
	ds_read_b32 v46, v78
	ds_read_b32 v49, v45 offset:5304
	v_mov_b32_e32 v40, v71
.LBB0_17:
	s_or_b32 exec_lo, exec_lo, s1
	s_and_saveexec_b32 s1, vcc_lo
	s_cbranch_execz .LBB0_20
; %bb.18:
	v_mul_i32_i24_e32 v18, 3, v76
	v_mov_b32_e32 v19, 0
	v_mul_u32_u24_e32 v45, 3, v61
	v_mad_u64_u32 v[111:112], null, s2, v61, 0
	v_add_nc_u32_e32 v143, 0x152, v61
	v_lshlrev_b64 v[57:58], 3, v[18:19]
	v_lshlrev_b32_e32 v18, 3, v45
	v_mad_u64_u32 v[113:114], null, s2, v70, 0
	v_add_nc_u32_e32 v144, 0x3f6, v61
	v_mad_u64_u32 v[115:116], null, s2, v67, 0
	v_add_co_u32 v45, vcc_lo, s8, v57
	v_add_co_ci_u32_e32 v55, vcc_lo, s9, v58, vcc_lo
	v_add_co_u32 v59, s1, s8, v18
	v_add_co_ci_u32_e64 v60, null, s9, 0, s1
	v_add_co_u32 v79, vcc_lo, 0xa80, v45
	v_mul_i32_i24_e32 v18, 3, v75
	v_add_co_ci_u32_e32 v80, vcc_lo, 0, v55, vcc_lo
	v_add_co_u32 v57, vcc_lo, 0x800, v59
	v_add_co_ci_u32_e32 v58, vcc_lo, 0, v60, vcc_lo
	v_add_co_u32 v75, vcc_lo, 0xa80, v59
	v_lshlrev_b64 v[89:90], 3, v[18:19]
	v_add_co_ci_u32_e32 v76, vcc_lo, 0, v60, vcc_lo
	v_add_co_u32 v77, vcc_lo, 0x800, v45
	v_add_co_ci_u32_e32 v78, vcc_lo, 0, v55, vcc_lo
	v_add_co_u32 v45, vcc_lo, s8, v89
	v_mul_i32_i24_e32 v18, 3, v74
	v_add_co_ci_u32_e32 v55, vcc_lo, s9, v90, vcc_lo
	v_add_co_u32 v89, vcc_lo, 0x800, v45
	v_lshlrev_b64 v[99:100], 3, v[18:19]
	v_add_co_ci_u32_e32 v90, vcc_lo, 0, v55, vcc_lo
	v_add_co_u32 v97, vcc_lo, 0xa80, v45
	v_add_co_ci_u32_e32 v98, vcc_lo, 0, v55, vcc_lo
	v_add_co_u32 v18, vcc_lo, s8, v99
	v_add_co_ci_u32_e32 v45, vcc_lo, s9, v100, vcc_lo
	s_clause 0x5
	global_load_dwordx4 v[57:60], v[57:58], off offset:640
	global_load_dwordx2 v[86:87], v[75:76], off offset:16
	global_load_dwordx4 v[75:78], v[77:78], off offset:640
	global_load_dwordx2 v[79:80], v[79:80], off offset:16
	;; [unrolled: 2-line block ×3, first 2 shown]
	v_add_co_u32 v97, vcc_lo, 0x800, v18
	v_add_co_ci_u32_e32 v98, vcc_lo, 0, v45, vcc_lo
	v_add_co_u32 v101, vcc_lo, 0xa80, v18
	v_mul_i32_i24_e32 v18, 3, v73
	v_add_co_ci_u32_e32 v102, vcc_lo, 0, v45, vcc_lo
	s_clause 0x1
	global_load_dwordx4 v[97:100], v[97:98], off offset:640
	global_load_dwordx2 v[105:106], v[101:102], off offset:16
	v_lshlrev_b64 v[73:74], 3, v[18:19]
	v_add_nc_u32_e32 v145, 0x186, v61
	v_mad_u64_u32 v[119:120], null, s2, v66, 0
	v_mad_u64_u32 v[117:118], null, s2, v69, 0
	v_add_co_u32 v18, vcc_lo, s8, v73
	v_add_co_ci_u32_e32 v45, vcc_lo, s9, v74, vcc_lo
	v_mad_u64_u32 v[121:122], null, s2, v68, 0
	v_add_co_u32 v73, vcc_lo, 0x800, v18
	v_add_co_ci_u32_e32 v74, vcc_lo, 0, v45, vcc_lo
	v_add_co_u32 v107, vcc_lo, 0xa80, v18
	v_mul_i32_i24_e32 v18, 3, v72
	v_add_co_ci_u32_e32 v108, vcc_lo, 0, v45, vcc_lo
	s_clause 0x1
	global_load_dwordx4 v[101:104], v[73:74], off offset:640
	global_load_dwordx2 v[107:108], v[107:108], off offset:16
	v_lshlrev_b64 v[71:72], 3, v[18:19]
	v_mad_u64_u32 v[125:126], null, s2, v143, 0
	v_add_nc_u32_e32 v146, 0x42a, v61
	v_mad_u64_u32 v[127:128], null, s2, v144, 0
	v_add_co_u32 v18, vcc_lo, s8, v71
	v_add_co_ci_u32_e32 v45, vcc_lo, s9, v72, vcc_lo
	v_mad_u64_u32 v[129:130], null, s2, v145, 0
	v_add_co_u32 v71, vcc_lo, 0x800, v18
	v_add_co_ci_u32_e32 v72, vcc_lo, 0, v45, vcc_lo
	v_add_co_u32 v109, vcc_lo, 0xa80, v18
	v_add_co_ci_u32_e32 v110, vcc_lo, 0, v45, vcc_lo
	s_clause 0x1
	global_load_dwordx4 v[71:74], v[71:72], off offset:640
	global_load_dwordx2 v[109:110], v[109:110], off offset:16
	v_mov_b32_e32 v18, v112
	v_mov_b32_e32 v45, v114
	;; [unrolled: 1-line block ×3, first 2 shown]
	v_mad_u64_u32 v[131:132], null, s2, v146, 0
	v_mov_b32_e32 v84, v120
	v_mov_b32_e32 v81, v118
	;; [unrolled: 1-line block ×3, first 2 shown]
	v_mad_u64_u32 v[137:138], null, s3, v61, v[18:19]
	v_mov_b32_e32 v18, v126
	s_waitcnt lgkmcnt(1)
	v_mad_u64_u32 v[138:139], null, s3, v70, v[45:46]
	v_mov_b32_e32 v45, v128
	v_mad_u64_u32 v[139:140], null, s3, v67, v[55:56]
	v_mov_b32_e32 v55, v130
	v_mad_u64_u32 v[140:141], null, s3, v66, v[84:85]
	v_mad_u64_u32 v[69:70], null, s3, v69, v[81:82]
	;; [unrolled: 1-line block ×4, first 2 shown]
	v_mov_b32_e32 v67, v132
	v_mad_u64_u32 v[143:144], null, s3, v144, v[45:46]
	v_mad_u64_u32 v[144:145], null, s3, v145, v[55:56]
	v_mov_b32_e32 v112, v137
	v_add_nc_u32_e32 v147, 0x1ba, v61
	v_mov_b32_e32 v114, v138
	v_mad_u64_u32 v[67:68], null, s3, v146, v[67:68]
	v_mov_b32_e32 v118, v69
	v_lshlrev_b64 v[68:69], 3, v[111:112]
	v_add_co_u32 v24, vcc_lo, s12, v24
	v_mov_b32_e32 v116, v139
	v_mad_u64_u32 v[133:134], null, s2, v147, 0
	v_add_co_ci_u32_e32 v25, vcc_lo, s13, v25, vcc_lo
	v_lshlrev_b64 v[111:112], 3, v[113:114]
	v_lshlrev_b64 v[113:114], 3, v[115:116]
	v_add_co_u32 v68, vcc_lo, v24, v68
	v_mov_b32_e32 v126, v142
	v_add_co_ci_u32_e32 v69, vcc_lo, v25, v69, vcc_lo
	v_lshlrev_b64 v[115:116], 3, v[117:118]
	v_add_co_u32 v111, vcc_lo, v24, v111
	v_mov_b32_e32 v66, v134
	v_mov_b32_e32 v120, v140
	;; [unrolled: 1-line block ×3, first 2 shown]
	v_add_co_ci_u32_e32 v112, vcc_lo, v25, v112, vcc_lo
	v_lshlrev_b64 v[117:118], 3, v[125:126]
	v_add_co_u32 v113, vcc_lo, v24, v113
	v_add_co_ci_u32_e32 v114, vcc_lo, v25, v114, vcc_lo
	v_mad_u64_u32 v[145:146], null, s3, v147, v[66:67]
	v_mov_b32_e32 v132, v67
	v_lshlrev_b64 v[66:67], 3, v[119:120]
	v_lshlrev_b64 v[119:120], 3, v[127:128]
	v_add_co_u32 v115, vcc_lo, v24, v115
	v_add_co_ci_u32_e32 v116, vcc_lo, v25, v116, vcc_lo
	v_add_co_u32 v117, vcc_lo, v24, v117
	v_add_co_ci_u32_e32 v118, vcc_lo, v25, v118, vcc_lo
	v_add_co_u32 v119, vcc_lo, v24, v119
	v_add_co_ci_u32_e32 v120, vcc_lo, v25, v120, vcc_lo
	v_add_nc_u32_e32 v148, 0x45e, v61
	v_mov_b32_e32 v130, v144
	v_mad_u64_u32 v[123:124], null, s2, v64, 0
	v_lshlrev_b64 v[127:128], 3, v[131:132]
	v_mad_u64_u32 v[135:136], null, s2, v148, 0
	v_lshlrev_b64 v[125:126], 3, v[129:130]
	v_mov_b32_e32 v134, v145
	v_mov_b32_e32 v122, v141
	v_add_co_u32 v125, vcc_lo, v24, v125
	v_add_co_ci_u32_e32 v126, vcc_lo, v25, v126, vcc_lo
	v_lshlrev_b64 v[129:130], 3, v[133:134]
	v_add_co_u32 v127, vcc_lo, v24, v127
	v_add_co_ci_u32_e32 v128, vcc_lo, v25, v128, vcc_lo
	s_waitcnt vmcnt(11)
	v_mul_f32_e32 v18, v0, v60
	v_mul_f32_e32 v45, v2, v57
	s_waitcnt vmcnt(10)
	v_mul_f32_e32 v55, v4, v86
	v_mul_f32_e32 v60, v26, v60
	;; [unrolled: 1-line block ×4, first 2 shown]
	s_waitcnt vmcnt(9)
	v_mul_f32_e32 v70, v13, v78
	v_mul_f32_e32 v81, v35, v76
	s_waitcnt vmcnt(8)
	v_mul_f32_e32 v84, v37, v80
	v_mul_f32_e32 v78, v39, v78
	;; [unrolled: 1-line block ×4, first 2 shown]
	v_fma_f32 v18, v26, v59, -v18
	v_fmac_f32_e32 v45, v20, v58
	v_fmac_f32_e32 v55, v22, v87
	;; [unrolled: 1-line block ×3, first 2 shown]
	v_fma_f32 v0, v20, v57, -v2
	v_fma_f32 v2, v22, v86, -v4
	;; [unrolled: 1-line block ×3, first 2 shown]
	v_fmac_f32_e32 v81, v15, v75
	v_fmac_f32_e32 v84, v17, v79
	;; [unrolled: 1-line block ×3, first 2 shown]
	v_fma_f32 v17, v35, v75, -v76
	v_fma_f32 v13, v37, v79, -v80
	s_waitcnt vmcnt(7)
	v_mul_f32_e32 v15, v12, v96
	v_mul_f32_e32 v20, v34, v94
	s_waitcnt vmcnt(6)
	v_mul_f32_e32 v22, v36, v90
	v_mul_f32_e32 v26, v38, v96
	;; [unrolled: 1-line block ×4, first 2 shown]
	v_sub_f32_e32 v18, v56, v18
	v_sub_f32_e32 v39, v45, v55
	;; [unrolled: 1-line block ×4, first 2 shown]
	s_waitcnt lgkmcnt(0)
	v_sub_f32_e32 v4, v53, v4
	v_sub_f32_e32 v57, v81, v84
	;; [unrolled: 1-line block ×4, first 2 shown]
	v_fma_f32 v38, v38, v95, -v15
	v_fmac_f32_e32 v20, v14, v93
	v_fmac_f32_e32 v22, v16, v89
	;; [unrolled: 1-line block ×3, first 2 shown]
	v_fma_f32 v60, v34, v93, -v35
	v_fma_f32 v16, v36, v89, -v37
	s_waitcnt vmcnt(5)
	v_mul_f32_e32 v34, v7, v100
	v_mul_f32_e32 v70, v9, v97
	s_waitcnt vmcnt(4)
	v_mul_f32_e32 v37, v31, v106
	v_mul_f32_e32 v75, v33, v100
	;; [unrolled: 1-line block ×4, first 2 shown]
	v_sub_f32_e32 v13, v18, v39
	v_add_f32_e32 v12, v55, v2
	v_fma_f32 v56, v56, 2.0, -v18
	v_fma_f32 v0, v0, 2.0, -v2
	;; [unrolled: 1-line block ×4, first 2 shown]
	v_sub_f32_e32 v15, v4, v57
	v_add_f32_e32 v14, v58, v59
	v_fma_f32 v39, v53, 2.0, -v4
	v_fma_f32 v45, v17, 2.0, -v59
	;; [unrolled: 1-line block ×4, first 2 shown]
	v_sub_f32_e32 v38, v54, v38
	v_sub_f32_e32 v22, v20, v22
	;; [unrolled: 1-line block ×4, first 2 shown]
	v_fma_f32 v76, v33, v99, -v34
	v_fmac_f32_e32 v70, v29, v98
	v_fmac_f32_e32 v37, v11, v105
	;; [unrolled: 1-line block ×3, first 2 shown]
	v_fma_f32 v11, v29, v97, -v9
	v_fma_f32 v29, v31, v105, -v35
	s_waitcnt vmcnt(3)
	v_mul_f32_e32 v31, v6, v104
	v_mul_f32_e32 v79, v32, v104
	;; [unrolled: 1-line block ×3, first 2 shown]
	s_waitcnt vmcnt(2)
	v_mul_f32_e32 v81, v10, v108
	v_mul_f32_e32 v77, v8, v101
	;; [unrolled: 1-line block ×3, first 2 shown]
	v_fma_f32 v8, v18, 2.0, -v13
	v_fma_f32 v7, v55, 2.0, -v12
	v_sub_f32_e32 v10, v56, v0
	v_sub_f32_e32 v9, v2, v36
	v_fma_f32 v16, v58, 2.0, -v14
	v_sub_f32_e32 v34, v39, v45
	v_sub_f32_e32 v33, v53, v57
	;; [unrolled: 1-line block ×3, first 2 shown]
	v_add_f32_e32 v35, v26, v59
	v_fma_f32 v0, v54, 2.0, -v38
	v_fma_f32 v18, v60, 2.0, -v59
	;; [unrolled: 1-line block ×4, first 2 shown]
	v_sub_f32_e32 v22, v52, v76
	v_sub_f32_e32 v54, v70, v37
	;; [unrolled: 1-line block ×4, first 2 shown]
	v_fma_f32 v32, v32, v103, -v31
	v_fmac_f32_e32 v79, v6, v103
	v_fma_f32 v58, v28, v101, -v80
	v_fma_f32 v6, v30, v107, -v81
	s_waitcnt vmcnt(1)
	v_mul_f32_e32 v59, v1, v74
	v_mul_f32_e32 v60, v3, v71
	s_waitcnt vmcnt(0)
	v_mul_f32_e32 v75, v5, v109
	v_mul_f32_e32 v74, v27, v74
	;; [unrolled: 1-line block ×4, first 2 shown]
	v_fmac_f32_e32 v77, v28, v102
	v_fmac_f32_e32 v78, v30, v108
	v_fma_f32 v3, v56, 2.0, -v10
	v_fma_f32 v2, v2, 2.0, -v9
	v_fma_f32 v29, v38, 2.0, -v36
	v_fma_f32 v28, v26, 2.0, -v35
	v_sub_f32_e32 v31, v0, v18
	v_sub_f32_e32 v30, v45, v20
	;; [unrolled: 1-line block ×3, first 2 shown]
	v_add_f32_e32 v37, v55, v57
	v_fma_f32 v18, v52, 2.0, -v22
	v_fma_f32 v11, v11, 2.0, -v57
	v_fma_f32 v20, v85, 2.0, -v55
	v_fma_f32 v26, v70, 2.0, -v54
	v_sub_f32_e32 v32, v51, v32
	v_sub_f32_e32 v54, v82, v79
	;; [unrolled: 1-line block ×3, first 2 shown]
	v_fma_f32 v27, v27, v73, -v59
	v_fmac_f32_e32 v60, v21, v72
	v_fmac_f32_e32 v75, v23, v110
	v_fmac_f32_e32 v74, v1, v73
	v_fma_f32 v21, v21, v71, -v76
	v_fma_f32 v23, v23, v109, -v80
	global_store_dwordx2 v[68:69], v[2:3], off
	global_store_dwordx2 v[117:118], v[7:8], off
	;; [unrolled: 1-line block ×4, first 2 shown]
	v_fma_f32 v1, v0, 2.0, -v31
	v_fma_f32 v0, v45, 2.0, -v30
	v_fma_f32 v3, v22, 2.0, -v38
	v_fma_f32 v2, v55, 2.0, -v37
	v_sub_f32_e32 v7, v18, v11
	v_sub_f32_e32 v6, v20, v26
	v_add_f32_e32 v8, v54, v52
	v_fma_f32 v45, v51, 2.0, -v32
	v_fma_f32 v12, v58, 2.0, -v52
	v_sub_f32_e32 v51, v50, v27
	v_sub_f32_e32 v22, v60, v75
	;; [unrolled: 1-line block ×4, first 2 shown]
	v_fma_f32 v5, v39, 2.0, -v34
	v_sub_f32_e32 v39, v77, v78
	v_fma_f32 v11, v18, 2.0, -v7
	v_fma_f32 v10, v20, 2.0, -v6
	v_fma_f32 v18, v50, 2.0, -v51
	v_fma_f32 v20, v21, 2.0, -v52
	v_fma_f32 v50, v83, 2.0, -v55
	v_fma_f32 v26, v60, 2.0, -v22
	v_sub_f32_e32 v9, v32, v39
	v_fma_f32 v56, v82, 2.0, -v54
	v_fma_f32 v39, v77, 2.0, -v39
	v_sub_f32_e32 v27, v18, v20
	v_sub_f32_e32 v26, v50, v26
	;; [unrolled: 1-line block ×3, first 2 shown]
	v_add_f32_e32 v22, v55, v52
	v_fma_f32 v17, v4, 2.0, -v15
	v_fma_f32 v4, v53, 2.0, -v33
	v_sub_f32_e32 v20, v56, v39
	v_fma_f32 v53, v18, 2.0, -v27
	v_fma_f32 v52, v50, 2.0, -v26
	v_mov_b32_e32 v18, v136
	v_fma_f32 v13, v32, 2.0, -v9
	v_fma_f32 v51, v51, 2.0, -v23
	v_fma_f32 v50, v55, 2.0, -v22
	v_mov_b32_e32 v32, v124
	v_add_nc_u32_e32 v39, 0x1ee, v61
	v_sub_f32_e32 v21, v45, v12
	v_fma_f32 v12, v54, 2.0, -v8
	v_fma_f32 v54, v56, 2.0, -v20
	global_store_dwordx2 v[113:114], v[52:53], off
	global_store_dwordx2 v[125:126], v[50:51], off
	v_add_co_u32 v50, vcc_lo, v24, v66
	v_mad_u64_u32 v[56:57], null, s3, v148, v[18:19]
	v_mad_u64_u32 v[57:58], null, s3, v64, v[32:33]
	v_add_co_ci_u32_e32 v51, vcc_lo, v25, v67, vcc_lo
	v_mad_u64_u32 v[58:59], null, s2, v39, 0
	v_add_co_u32 v52, vcc_lo, v24, v129
	v_add_co_ci_u32_e32 v53, vcc_lo, v25, v130, vcc_lo
	v_fma_f32 v55, v45, 2.0, -v21
	global_store_dwordx2 v[115:116], v[26:27], off
	global_store_dwordx2 v[127:128], v[22:23], off
	;; [unrolled: 1-line block ×4, first 2 shown]
	v_mov_b32_e32 v136, v56
	v_mov_b32_e32 v12, v59
	v_mad_u64_u32 v[52:53], null, s2, v65, 0
	v_lshlrev_b64 v[22:23], 3, v[121:122]
	v_mul_hi_u32 v18, 0x60f25deb, v63
	v_mov_b32_e32 v124, v57
	v_lshlrev_b64 v[26:27], 3, v[135:136]
	v_mad_u64_u32 v[12:13], null, s3, v39, v[12:13]
	v_add_co_u32 v22, vcc_lo, v24, v22
	v_lshlrev_b64 v[50:51], 3, v[123:124]
	v_mov_b32_e32 v13, v53
	v_add_co_ci_u32_e32 v23, vcc_lo, v25, v23, vcc_lo
	v_lshrrev_b32_e32 v18, 7, v18
	v_add_co_u32 v26, vcc_lo, v24, v26
	v_add_nc_u32_e32 v32, 0x492, v61
	v_add_co_ci_u32_e32 v27, vcc_lo, v25, v27, vcc_lo
	v_mov_b32_e32 v59, v12
	v_mad_u64_u32 v[12:13], null, s3, v65, v[13:14]
	v_add_co_u32 v50, vcc_lo, v24, v50
	v_mad_u32_u24 v39, 0x3f6, v18, v63
	v_add_co_ci_u32_e32 v51, vcc_lo, v25, v51, vcc_lo
	v_mad_u64_u32 v[54:55], null, s2, v32, 0
	global_store_dwordx2 v[22:23], v[20:21], off
	global_store_dwordx2 v[26:27], v[8:9], off
	global_store_dwordx2 v[50:51], v[10:11], off
	v_add_nc_u32_e32 v26, 0x152, v39
	v_mov_b32_e32 v53, v12
	v_mad_u64_u32 v[11:12], null, s2, v39, 0
	v_mov_b32_e32 v10, v55
	v_mad_u64_u32 v[20:21], null, s2, v26, 0
	v_lshlrev_b64 v[8:9], 3, v[58:59]
	v_mad_u64_u32 v[22:23], null, s3, v32, v[10:11]
	v_mov_b32_e32 v10, v12
	v_lshlrev_b64 v[12:13], 3, v[52:53]
	v_mov_b32_e32 v18, v21
	v_add_co_u32 v8, vcc_lo, v24, v8
	v_add_co_ci_u32_e32 v9, vcc_lo, v25, v9, vcc_lo
	v_mov_b32_e32 v55, v22
	v_mad_u64_u32 v[21:22], null, s3, v39, v[10:11]
	v_mad_u64_u32 v[22:23], null, s3, v26, v[18:19]
	v_add_nc_u32_e32 v18, 0x2a4, v39
	v_add_co_u32 v12, vcc_lo, v24, v12
	v_add_co_ci_u32_e32 v13, vcc_lo, v25, v13, vcc_lo
	global_store_dwordx2 v[8:9], v[2:3], off
	v_mad_u64_u32 v[8:9], null, s2, v18, 0
	global_store_dwordx2 v[12:13], v[6:7], off
	v_mov_b32_e32 v12, v21
	v_mul_hi_u32 v13, 0x60f25deb, v62
	v_lshlrev_b64 v[2:3], 3, v[54:55]
	v_mov_b32_e32 v21, v22
	v_mov_b32_e32 v6, v9
	v_lshlrev_b64 v[9:10], 3, v[11:12]
	v_add_co_u32 v2, vcc_lo, v24, v2
	v_lshlrev_b64 v[11:12], 3, v[20:21]
	v_lshrrev_b32_e32 v13, 7, v13
	v_add_co_ci_u32_e32 v3, vcc_lo, v25, v3, vcc_lo
	v_mad_u64_u32 v[6:7], null, s3, v18, v[6:7]
	v_add_co_u32 v20, vcc_lo, v24, v9
	v_add_co_ci_u32_e32 v21, vcc_lo, v25, v10, vcc_lo
	v_add_co_u32 v10, vcc_lo, v24, v11
	v_mad_u32_u24 v22, 0x3f6, v13, v62
	v_add_co_ci_u32_e32 v11, vcc_lo, v25, v12, vcc_lo
	v_add_nc_u32_e32 v18, 0x3f6, v39
	v_mov_b32_e32 v9, v6
	global_store_dwordx2 v[2:3], v[37:38], off
	global_store_dwordx2 v[20:21], v[0:1], off
	;; [unrolled: 1-line block ×3, first 2 shown]
	v_add_nc_u32_e32 v20, 0x152, v22
	v_mad_u64_u32 v[2:3], null, s2, v22, 0
	v_mad_u64_u32 v[6:7], null, s2, v18, 0
	v_lshlrev_b64 v[0:1], 3, v[8:9]
	v_mad_u64_u32 v[8:9], null, s2, v20, 0
	v_add_nc_u32_e32 v23, 0x3f6, v22
	v_add_co_u32 v0, vcc_lo, v24, v0
	v_add_co_ci_u32_e32 v1, vcc_lo, v25, v1, vcc_lo
	v_mad_u64_u32 v[10:11], null, s3, v18, v[7:8]
	v_add_nc_u32_e32 v18, 0x2a4, v22
	v_mad_u64_u32 v[11:12], null, s3, v22, v[3:4]
	v_mov_b32_e32 v3, v9
	global_store_dwordx2 v[0:1], v[30:31], off
	v_mad_u64_u32 v[12:13], null, s2, v18, 0
	v_mov_b32_e32 v7, v10
	v_mad_u64_u32 v[20:21], null, s3, v20, v[3:4]
	v_mad_u64_u32 v[21:22], null, s2, v23, 0
	v_mov_b32_e32 v3, v11
	v_mov_b32_e32 v0, v13
	v_lshlrev_b64 v[6:7], 3, v[6:7]
	v_mov_b32_e32 v9, v20
	v_lshlrev_b64 v[2:3], 3, v[2:3]
	v_mad_u64_u32 v[0:1], null, s3, v18, v[0:1]
	v_mov_b32_e32 v1, v22
	v_add_co_u32 v6, vcc_lo, v24, v6
	v_add_co_ci_u32_e32 v7, vcc_lo, v25, v7, vcc_lo
	v_mad_u64_u32 v[10:11], null, s3, v23, v[1:2]
	v_mov_b32_e32 v13, v0
	v_lshlrev_b64 v[8:9], 3, v[8:9]
	v_add_co_u32 v0, vcc_lo, v24, v2
	v_add_co_ci_u32_e32 v1, vcc_lo, v25, v3, vcc_lo
	v_mov_b32_e32 v22, v10
	v_lshlrev_b64 v[2:3], 3, v[12:13]
	v_add_co_u32 v8, vcc_lo, v24, v8
	v_add_co_ci_u32_e32 v9, vcc_lo, v25, v9, vcc_lo
	v_lshlrev_b64 v[10:11], 3, v[21:22]
	v_add_co_u32 v2, vcc_lo, v24, v2
	v_add_co_ci_u32_e32 v3, vcc_lo, v25, v3, vcc_lo
	v_add_co_u32 v10, vcc_lo, v24, v10
	v_add_co_ci_u32_e32 v11, vcc_lo, v25, v11, vcc_lo
	global_store_dwordx2 v[6:7], v[35:36], off
	global_store_dwordx2 v[0:1], v[4:5], off
	;; [unrolled: 1-line block ×5, first 2 shown]
	s_and_b32 exec_lo, exec_lo, s0
	s_cbranch_execz .LBB0_20
; %bb.19:
	v_mul_i32_i24_e32 v18, 3, v40
	v_add_nc_u32_e32 v14, 0x138, v61
	v_add_nc_u32_e32 v16, 0x28a, v61
	;; [unrolled: 1-line block ×3, first 2 shown]
	v_lshlrev_b64 v[0:1], 3, v[18:19]
	v_add_nc_u32_e32 v18, 0x52e, v61
	v_mad_u64_u32 v[6:7], null, s2, v14, 0
	v_mad_u64_u32 v[8:9], null, s2, v16, 0
	v_add_co_u32 v2, vcc_lo, s8, v0
	v_add_co_ci_u32_e32 v3, vcc_lo, s9, v1, vcc_lo
	v_mad_u64_u32 v[10:11], null, s2, v17, 0
	v_add_co_u32 v0, vcc_lo, 0x800, v2
	v_add_co_ci_u32_e32 v1, vcc_lo, 0, v3, vcc_lo
	v_add_co_u32 v4, vcc_lo, 0xa80, v2
	v_add_co_ci_u32_e32 v5, vcc_lo, 0, v3, vcc_lo
	s_clause 0x1
	global_load_dwordx4 v[0:3], v[0:1], off offset:640
	global_load_dwordx2 v[4:5], v[4:5], off offset:16
	v_mad_u64_u32 v[12:13], null, s2, v18, 0
	v_mad_u64_u32 v[14:15], null, s3, v14, v[7:8]
	;; [unrolled: 1-line block ×5, first 2 shown]
	v_mov_b32_e32 v7, v14
	v_mov_b32_e32 v9, v15
	;; [unrolled: 1-line block ×3, first 2 shown]
	v_lshlrev_b64 v[6:7], 3, v[6:7]
	v_mov_b32_e32 v13, v17
	v_lshlrev_b64 v[8:9], 3, v[8:9]
	v_lshlrev_b64 v[10:11], 3, v[10:11]
	s_waitcnt vmcnt(1)
	v_mul_f32_e32 v14, v48, v1
	v_mul_f32_e32 v1, v42, v1
	;; [unrolled: 1-line block ×4, first 2 shown]
	s_waitcnt vmcnt(0)
	v_mul_f32_e32 v16, v49, v5
	v_mul_f32_e32 v5, v44, v5
	v_fmac_f32_e32 v14, v42, v0
	v_fma_f32 v17, v48, v0, -v1
	v_fmac_f32_e32 v15, v43, v2
	v_fma_f32 v2, v47, v2, -v3
	;; [unrolled: 2-line block ×3, first 2 shown]
	v_lshlrev_b64 v[0:1], 3, v[12:13]
	v_sub_f32_e32 v12, v41, v15
	v_sub_f32_e32 v13, v46, v2
	;; [unrolled: 1-line block ×4, first 2 shown]
	v_add_co_u32 v2, vcc_lo, v24, v6
	v_fma_f32 v18, v41, 2.0, -v12
	v_fma_f32 v19, v46, 2.0, -v13
	;; [unrolled: 1-line block ×4, first 2 shown]
	v_add_co_ci_u32_e32 v3, vcc_lo, v25, v7, vcc_lo
	v_add_co_u32 v4, vcc_lo, v24, v8
	v_add_co_ci_u32_e32 v5, vcc_lo, v25, v9, vcc_lo
	v_sub_f32_e32 v8, v18, v14
	v_sub_f32_e32 v9, v19, v17
	v_add_f32_e32 v6, v12, v16
	v_sub_f32_e32 v7, v13, v15
	v_add_co_u32 v10, vcc_lo, v24, v10
	v_add_co_ci_u32_e32 v11, vcc_lo, v25, v11, vcc_lo
	v_fma_f32 v14, v18, 2.0, -v8
	v_fma_f32 v15, v19, 2.0, -v9
	;; [unrolled: 1-line block ×4, first 2 shown]
	v_add_co_u32 v0, vcc_lo, v24, v0
	v_add_co_ci_u32_e32 v1, vcc_lo, v25, v1, vcc_lo
	global_store_dwordx2 v[2:3], v[14:15], off
	global_store_dwordx2 v[4:5], v[12:13], off
	global_store_dwordx2 v[10:11], v[8:9], off
	global_store_dwordx2 v[0:1], v[6:7], off
.LBB0_20:
	s_endpgm
	.section	.rodata,"a",@progbits
	.p2align	6, 0x0
	.amdhsa_kernel fft_rtc_back_len1352_factors_2_13_13_4_wgs_52_tpt_52_halfLds_sp_ip_CI_sbrr_dirReg
		.amdhsa_group_segment_fixed_size 0
		.amdhsa_private_segment_fixed_size 0
		.amdhsa_kernarg_size 88
		.amdhsa_user_sgpr_count 6
		.amdhsa_user_sgpr_private_segment_buffer 1
		.amdhsa_user_sgpr_dispatch_ptr 0
		.amdhsa_user_sgpr_queue_ptr 0
		.amdhsa_user_sgpr_kernarg_segment_ptr 1
		.amdhsa_user_sgpr_dispatch_id 0
		.amdhsa_user_sgpr_flat_scratch_init 0
		.amdhsa_user_sgpr_private_segment_size 0
		.amdhsa_wavefront_size32 1
		.amdhsa_uses_dynamic_stack 0
		.amdhsa_system_sgpr_private_segment_wavefront_offset 0
		.amdhsa_system_sgpr_workgroup_id_x 1
		.amdhsa_system_sgpr_workgroup_id_y 0
		.amdhsa_system_sgpr_workgroup_id_z 0
		.amdhsa_system_sgpr_workgroup_info 0
		.amdhsa_system_vgpr_workitem_id 0
		.amdhsa_next_free_vgpr 167
		.amdhsa_next_free_sgpr 23
		.amdhsa_reserve_vcc 1
		.amdhsa_reserve_flat_scratch 0
		.amdhsa_float_round_mode_32 0
		.amdhsa_float_round_mode_16_64 0
		.amdhsa_float_denorm_mode_32 3
		.amdhsa_float_denorm_mode_16_64 3
		.amdhsa_dx10_clamp 1
		.amdhsa_ieee_mode 1
		.amdhsa_fp16_overflow 0
		.amdhsa_workgroup_processor_mode 1
		.amdhsa_memory_ordered 1
		.amdhsa_forward_progress 0
		.amdhsa_shared_vgpr_count 0
		.amdhsa_exception_fp_ieee_invalid_op 0
		.amdhsa_exception_fp_denorm_src 0
		.amdhsa_exception_fp_ieee_div_zero 0
		.amdhsa_exception_fp_ieee_overflow 0
		.amdhsa_exception_fp_ieee_underflow 0
		.amdhsa_exception_fp_ieee_inexact 0
		.amdhsa_exception_int_div_zero 0
	.end_amdhsa_kernel
	.text
.Lfunc_end0:
	.size	fft_rtc_back_len1352_factors_2_13_13_4_wgs_52_tpt_52_halfLds_sp_ip_CI_sbrr_dirReg, .Lfunc_end0-fft_rtc_back_len1352_factors_2_13_13_4_wgs_52_tpt_52_halfLds_sp_ip_CI_sbrr_dirReg
                                        ; -- End function
	.section	.AMDGPU.csdata,"",@progbits
; Kernel info:
; codeLenInByte = 20680
; NumSgprs: 25
; NumVgprs: 167
; ScratchSize: 0
; MemoryBound: 0
; FloatMode: 240
; IeeeMode: 1
; LDSByteSize: 0 bytes/workgroup (compile time only)
; SGPRBlocks: 3
; VGPRBlocks: 20
; NumSGPRsForWavesPerEU: 25
; NumVGPRsForWavesPerEU: 167
; Occupancy: 5
; WaveLimiterHint : 1
; COMPUTE_PGM_RSRC2:SCRATCH_EN: 0
; COMPUTE_PGM_RSRC2:USER_SGPR: 6
; COMPUTE_PGM_RSRC2:TRAP_HANDLER: 0
; COMPUTE_PGM_RSRC2:TGID_X_EN: 1
; COMPUTE_PGM_RSRC2:TGID_Y_EN: 0
; COMPUTE_PGM_RSRC2:TGID_Z_EN: 0
; COMPUTE_PGM_RSRC2:TIDIG_COMP_CNT: 0
	.text
	.p2alignl 6, 3214868480
	.fill 48, 4, 3214868480
	.type	__hip_cuid_6481589c5915d533,@object ; @__hip_cuid_6481589c5915d533
	.section	.bss,"aw",@nobits
	.globl	__hip_cuid_6481589c5915d533
__hip_cuid_6481589c5915d533:
	.byte	0                               ; 0x0
	.size	__hip_cuid_6481589c5915d533, 1

	.ident	"AMD clang version 19.0.0git (https://github.com/RadeonOpenCompute/llvm-project roc-6.4.0 25133 c7fe45cf4b819c5991fe208aaa96edf142730f1d)"
	.section	".note.GNU-stack","",@progbits
	.addrsig
	.addrsig_sym __hip_cuid_6481589c5915d533
	.amdgpu_metadata
---
amdhsa.kernels:
  - .args:
      - .actual_access:  read_only
        .address_space:  global
        .offset:         0
        .size:           8
        .value_kind:     global_buffer
      - .offset:         8
        .size:           8
        .value_kind:     by_value
      - .actual_access:  read_only
        .address_space:  global
        .offset:         16
        .size:           8
        .value_kind:     global_buffer
      - .actual_access:  read_only
        .address_space:  global
        .offset:         24
        .size:           8
        .value_kind:     global_buffer
      - .offset:         32
        .size:           8
        .value_kind:     by_value
      - .actual_access:  read_only
        .address_space:  global
        .offset:         40
        .size:           8
        .value_kind:     global_buffer
      - .actual_access:  read_only
        .address_space:  global
        .offset:         48
        .size:           8
        .value_kind:     global_buffer
      - .offset:         56
        .size:           4
        .value_kind:     by_value
      - .actual_access:  read_only
        .address_space:  global
        .offset:         64
        .size:           8
        .value_kind:     global_buffer
      - .actual_access:  read_only
        .address_space:  global
        .offset:         72
        .size:           8
        .value_kind:     global_buffer
      - .address_space:  global
        .offset:         80
        .size:           8
        .value_kind:     global_buffer
    .group_segment_fixed_size: 0
    .kernarg_segment_align: 8
    .kernarg_segment_size: 88
    .language:       OpenCL C
    .language_version:
      - 2
      - 0
    .max_flat_workgroup_size: 52
    .name:           fft_rtc_back_len1352_factors_2_13_13_4_wgs_52_tpt_52_halfLds_sp_ip_CI_sbrr_dirReg
    .private_segment_fixed_size: 0
    .sgpr_count:     25
    .sgpr_spill_count: 0
    .symbol:         fft_rtc_back_len1352_factors_2_13_13_4_wgs_52_tpt_52_halfLds_sp_ip_CI_sbrr_dirReg.kd
    .uniform_work_group_size: 1
    .uses_dynamic_stack: false
    .vgpr_count:     167
    .vgpr_spill_count: 0
    .wavefront_size: 32
    .workgroup_processor_mode: 1
amdhsa.target:   amdgcn-amd-amdhsa--gfx1030
amdhsa.version:
  - 1
  - 2
...

	.end_amdgpu_metadata
